;; amdgpu-corpus repo=ROCm/rocFFT kind=compiled arch=gfx1030 opt=O3
	.text
	.amdgcn_target "amdgcn-amd-amdhsa--gfx1030"
	.amdhsa_code_object_version 6
	.protected	fft_rtc_fwd_len2040_factors_17_4_3_10_wgs_170_tpt_170_halfLds_dp_op_CI_CI_unitstride_sbrr_C2R_dirReg ; -- Begin function fft_rtc_fwd_len2040_factors_17_4_3_10_wgs_170_tpt_170_halfLds_dp_op_CI_CI_unitstride_sbrr_C2R_dirReg
	.globl	fft_rtc_fwd_len2040_factors_17_4_3_10_wgs_170_tpt_170_halfLds_dp_op_CI_CI_unitstride_sbrr_C2R_dirReg
	.p2align	8
	.type	fft_rtc_fwd_len2040_factors_17_4_3_10_wgs_170_tpt_170_halfLds_dp_op_CI_CI_unitstride_sbrr_C2R_dirReg,@function
fft_rtc_fwd_len2040_factors_17_4_3_10_wgs_170_tpt_170_halfLds_dp_op_CI_CI_unitstride_sbrr_C2R_dirReg: ; @fft_rtc_fwd_len2040_factors_17_4_3_10_wgs_170_tpt_170_halfLds_dp_op_CI_CI_unitstride_sbrr_C2R_dirReg
; %bb.0:
	s_clause 0x2
	s_load_dwordx4 s[12:15], s[4:5], 0x0
	s_load_dwordx4 s[8:11], s[4:5], 0x58
	;; [unrolled: 1-line block ×3, first 2 shown]
	v_mul_u32_u24_e32 v1, 0x182, v0
	v_mov_b32_e32 v3, 0
	s_mov_b64 s[62:63], s[2:3]
	s_mov_b64 s[60:61], s[0:1]
	v_add_nc_u32_sdwa v5, s6, v1 dst_sel:DWORD dst_unused:UNUSED_PAD src0_sel:DWORD src1_sel:WORD_1
	v_mov_b32_e32 v1, 0
	v_mov_b32_e32 v6, v3
	;; [unrolled: 1-line block ×3, first 2 shown]
	s_add_u32 s60, s60, s7
	s_addc_u32 s61, s61, 0
	s_waitcnt lgkmcnt(0)
	v_cmp_lt_u64_e64 s0, s[14:15], 2
	s_and_b32 vcc_lo, exec_lo, s0
	s_cbranch_vccnz .LBB0_8
; %bb.1:
	s_load_dwordx2 s[0:1], s[4:5], 0x10
	v_mov_b32_e32 v1, 0
	v_mov_b32_e32 v2, 0
	s_add_u32 s2, s18, 8
	s_addc_u32 s3, s19, 0
	s_add_u32 s6, s16, 8
	s_addc_u32 s7, s17, 0
	v_mov_b32_e32 v89, v2
	v_mov_b32_e32 v88, v1
	s_mov_b64 s[22:23], 1
	s_waitcnt lgkmcnt(0)
	s_add_u32 s20, s0, 8
	s_addc_u32 s21, s1, 0
.LBB0_2:                                ; =>This Inner Loop Header: Depth=1
	s_load_dwordx2 s[24:25], s[20:21], 0x0
                                        ; implicit-def: $vgpr92_vgpr93
	s_mov_b32 s0, exec_lo
	s_waitcnt lgkmcnt(0)
	v_or_b32_e32 v4, s25, v6
	v_cmpx_ne_u64_e32 0, v[3:4]
	s_xor_b32 s1, exec_lo, s0
	s_cbranch_execz .LBB0_4
; %bb.3:                                ;   in Loop: Header=BB0_2 Depth=1
	v_cvt_f32_u32_e32 v4, s24
	v_cvt_f32_u32_e32 v7, s25
	s_sub_u32 s0, 0, s24
	s_subb_u32 s26, 0, s25
	v_fmac_f32_e32 v4, 0x4f800000, v7
	v_rcp_f32_e32 v4, v4
	v_mul_f32_e32 v4, 0x5f7ffffc, v4
	v_mul_f32_e32 v7, 0x2f800000, v4
	v_trunc_f32_e32 v7, v7
	v_fmac_f32_e32 v4, 0xcf800000, v7
	v_cvt_u32_f32_e32 v7, v7
	v_cvt_u32_f32_e32 v4, v4
	v_mul_lo_u32 v8, s0, v7
	v_mul_hi_u32 v9, s0, v4
	v_mul_lo_u32 v10, s26, v4
	v_add_nc_u32_e32 v8, v9, v8
	v_mul_lo_u32 v9, s0, v4
	v_add_nc_u32_e32 v8, v8, v10
	v_mul_hi_u32 v10, v4, v9
	v_mul_lo_u32 v11, v4, v8
	v_mul_hi_u32 v12, v4, v8
	v_mul_hi_u32 v13, v7, v9
	v_mul_lo_u32 v9, v7, v9
	v_mul_hi_u32 v14, v7, v8
	v_mul_lo_u32 v8, v7, v8
	v_add_co_u32 v10, vcc_lo, v10, v11
	v_add_co_ci_u32_e32 v11, vcc_lo, 0, v12, vcc_lo
	v_add_co_u32 v9, vcc_lo, v10, v9
	v_add_co_ci_u32_e32 v9, vcc_lo, v11, v13, vcc_lo
	v_add_co_ci_u32_e32 v10, vcc_lo, 0, v14, vcc_lo
	v_add_co_u32 v8, vcc_lo, v9, v8
	v_add_co_ci_u32_e32 v9, vcc_lo, 0, v10, vcc_lo
	v_add_co_u32 v4, vcc_lo, v4, v8
	v_add_co_ci_u32_e32 v7, vcc_lo, v7, v9, vcc_lo
	v_mul_hi_u32 v8, s0, v4
	v_mul_lo_u32 v10, s26, v4
	v_mul_lo_u32 v9, s0, v7
	v_add_nc_u32_e32 v8, v8, v9
	v_mul_lo_u32 v9, s0, v4
	v_add_nc_u32_e32 v8, v8, v10
	v_mul_hi_u32 v10, v4, v9
	v_mul_lo_u32 v11, v4, v8
	v_mul_hi_u32 v12, v4, v8
	v_mul_hi_u32 v13, v7, v9
	v_mul_lo_u32 v9, v7, v9
	v_mul_hi_u32 v14, v7, v8
	v_mul_lo_u32 v8, v7, v8
	v_add_co_u32 v10, vcc_lo, v10, v11
	v_add_co_ci_u32_e32 v11, vcc_lo, 0, v12, vcc_lo
	v_add_co_u32 v9, vcc_lo, v10, v9
	v_add_co_ci_u32_e32 v9, vcc_lo, v11, v13, vcc_lo
	v_add_co_ci_u32_e32 v10, vcc_lo, 0, v14, vcc_lo
	v_add_co_u32 v8, vcc_lo, v9, v8
	v_add_co_ci_u32_e32 v9, vcc_lo, 0, v10, vcc_lo
	v_add_co_u32 v4, vcc_lo, v4, v8
	v_add_co_ci_u32_e32 v11, vcc_lo, v7, v9, vcc_lo
	v_mul_hi_u32 v13, v5, v4
	v_mad_u64_u32 v[9:10], null, v6, v4, 0
	v_mad_u64_u32 v[7:8], null, v5, v11, 0
	;; [unrolled: 1-line block ×3, first 2 shown]
	v_add_co_u32 v4, vcc_lo, v13, v7
	v_add_co_ci_u32_e32 v7, vcc_lo, 0, v8, vcc_lo
	v_add_co_u32 v4, vcc_lo, v4, v9
	v_add_co_ci_u32_e32 v4, vcc_lo, v7, v10, vcc_lo
	v_add_co_ci_u32_e32 v7, vcc_lo, 0, v12, vcc_lo
	v_add_co_u32 v4, vcc_lo, v4, v11
	v_add_co_ci_u32_e32 v9, vcc_lo, 0, v7, vcc_lo
	v_mul_lo_u32 v10, s25, v4
	v_mad_u64_u32 v[7:8], null, s24, v4, 0
	v_mul_lo_u32 v11, s24, v9
	v_sub_co_u32 v7, vcc_lo, v5, v7
	v_add3_u32 v8, v8, v11, v10
	v_sub_nc_u32_e32 v10, v6, v8
	v_subrev_co_ci_u32_e64 v10, s0, s25, v10, vcc_lo
	v_add_co_u32 v11, s0, v4, 2
	v_add_co_ci_u32_e64 v12, s0, 0, v9, s0
	v_sub_co_u32 v13, s0, v7, s24
	v_sub_co_ci_u32_e32 v8, vcc_lo, v6, v8, vcc_lo
	v_subrev_co_ci_u32_e64 v10, s0, 0, v10, s0
	v_cmp_le_u32_e32 vcc_lo, s24, v13
	v_cmp_eq_u32_e64 s0, s25, v8
	v_cndmask_b32_e64 v13, 0, -1, vcc_lo
	v_cmp_le_u32_e32 vcc_lo, s25, v10
	v_cndmask_b32_e64 v14, 0, -1, vcc_lo
	v_cmp_le_u32_e32 vcc_lo, s24, v7
	;; [unrolled: 2-line block ×3, first 2 shown]
	v_cndmask_b32_e64 v15, 0, -1, vcc_lo
	v_cmp_eq_u32_e32 vcc_lo, s25, v10
	v_cndmask_b32_e64 v7, v15, v7, s0
	v_cndmask_b32_e32 v10, v14, v13, vcc_lo
	v_add_co_u32 v13, vcc_lo, v4, 1
	v_add_co_ci_u32_e32 v14, vcc_lo, 0, v9, vcc_lo
	v_cmp_ne_u32_e32 vcc_lo, 0, v10
	v_cndmask_b32_e32 v8, v14, v12, vcc_lo
	v_cndmask_b32_e32 v10, v13, v11, vcc_lo
	v_cmp_ne_u32_e32 vcc_lo, 0, v7
	v_cndmask_b32_e32 v93, v9, v8, vcc_lo
	v_cndmask_b32_e32 v92, v4, v10, vcc_lo
.LBB0_4:                                ;   in Loop: Header=BB0_2 Depth=1
	s_andn2_saveexec_b32 s0, s1
	s_cbranch_execz .LBB0_6
; %bb.5:                                ;   in Loop: Header=BB0_2 Depth=1
	v_cvt_f32_u32_e32 v4, s24
	s_sub_i32 s1, 0, s24
	v_mov_b32_e32 v93, v3
	v_rcp_iflag_f32_e32 v4, v4
	v_mul_f32_e32 v4, 0x4f7ffffe, v4
	v_cvt_u32_f32_e32 v4, v4
	v_mul_lo_u32 v7, s1, v4
	v_mul_hi_u32 v7, v4, v7
	v_add_nc_u32_e32 v4, v4, v7
	v_mul_hi_u32 v4, v5, v4
	v_mul_lo_u32 v7, v4, s24
	v_add_nc_u32_e32 v8, 1, v4
	v_sub_nc_u32_e32 v7, v5, v7
	v_subrev_nc_u32_e32 v9, s24, v7
	v_cmp_le_u32_e32 vcc_lo, s24, v7
	v_cndmask_b32_e32 v7, v7, v9, vcc_lo
	v_cndmask_b32_e32 v4, v4, v8, vcc_lo
	v_cmp_le_u32_e32 vcc_lo, s24, v7
	v_add_nc_u32_e32 v8, 1, v4
	v_cndmask_b32_e32 v92, v4, v8, vcc_lo
.LBB0_6:                                ;   in Loop: Header=BB0_2 Depth=1
	s_or_b32 exec_lo, exec_lo, s0
	v_mul_lo_u32 v4, v93, s24
	v_mul_lo_u32 v9, v92, s25
	s_load_dwordx2 s[0:1], s[6:7], 0x0
	v_mad_u64_u32 v[7:8], null, v92, s24, 0
	s_load_dwordx2 s[24:25], s[2:3], 0x0
	s_add_u32 s22, s22, 1
	s_addc_u32 s23, s23, 0
	s_add_u32 s2, s2, 8
	s_addc_u32 s3, s3, 0
	s_add_u32 s6, s6, 8
	v_add3_u32 v4, v8, v9, v4
	v_sub_co_u32 v5, vcc_lo, v5, v7
	s_addc_u32 s7, s7, 0
	s_add_u32 s20, s20, 8
	v_sub_co_ci_u32_e32 v4, vcc_lo, v6, v4, vcc_lo
	s_addc_u32 s21, s21, 0
	s_waitcnt lgkmcnt(0)
	v_mul_lo_u32 v6, s0, v4
	v_mul_lo_u32 v7, s1, v5
	v_mad_u64_u32 v[1:2], null, s0, v5, v[1:2]
	v_mul_lo_u32 v4, s24, v4
	v_mul_lo_u32 v8, s25, v5
	v_mad_u64_u32 v[88:89], null, s24, v5, v[88:89]
	v_cmp_ge_u64_e64 s0, s[22:23], s[14:15]
	v_add3_u32 v2, v7, v2, v6
	v_add3_u32 v89, v8, v89, v4
	s_and_b32 vcc_lo, exec_lo, s0
	s_cbranch_vccnz .LBB0_9
; %bb.7:                                ;   in Loop: Header=BB0_2 Depth=1
	v_mov_b32_e32 v5, v92
	v_mov_b32_e32 v6, v93
	s_branch .LBB0_2
.LBB0_8:
	v_mov_b32_e32 v89, v2
	v_mov_b32_e32 v93, v6
	;; [unrolled: 1-line block ×4, first 2 shown]
.LBB0_9:
	s_load_dwordx2 s[0:1], s[4:5], 0x28
	v_mul_hi_u32 v3, 0x1818182, v0
	s_lshl_b64 s[4:5], s[14:15], 3
                                        ; implicit-def: $vgpr90
	s_add_u32 s2, s18, s4
	s_addc_u32 s3, s19, s5
	s_waitcnt lgkmcnt(0)
	v_cmp_gt_u64_e32 vcc_lo, s[0:1], v[92:93]
	v_cmp_le_u64_e64 s0, s[0:1], v[92:93]
	s_and_saveexec_b32 s1, s0
	s_xor_b32 s0, exec_lo, s1
; %bb.10:
	v_mul_u32_u24_e32 v1, 0xaa, v3
                                        ; implicit-def: $vgpr3
	v_sub_nc_u32_e32 v90, v0, v1
                                        ; implicit-def: $vgpr0
                                        ; implicit-def: $vgpr1_vgpr2
; %bb.11:
	s_or_saveexec_b32 s1, s0
	s_load_dwordx2 s[2:3], s[2:3], 0x0
	s_xor_b32 exec_lo, exec_lo, s1
	s_cbranch_execz .LBB0_15
; %bb.12:
	s_add_u32 s4, s16, s4
	s_addc_u32 s5, s17, s5
	v_lshlrev_b64 v[1:2], 4, v[1:2]
	s_load_dwordx2 s[4:5], s[4:5], 0x0
	s_waitcnt lgkmcnt(0)
	v_mul_lo_u32 v6, s5, v92
	v_mul_lo_u32 v7, s4, v93
	v_mad_u64_u32 v[4:5], null, s4, v92, 0
	s_mov_b32 s4, exec_lo
	v_add3_u32 v5, v5, v7, v6
	v_mul_u32_u24_e32 v6, 0xaa, v3
	v_lshlrev_b64 v[3:4], 4, v[4:5]
	v_sub_nc_u32_e32 v90, v0, v6
	v_lshlrev_b32_e32 v50, 4, v90
	v_add_co_u32 v0, s0, s8, v3
	v_add_co_ci_u32_e64 v3, s0, s9, v4, s0
	v_add_co_u32 v0, s0, v0, v1
	v_add_co_ci_u32_e64 v1, s0, v3, v2, s0
	;; [unrolled: 2-line block ×3, first 2 shown]
	v_add_nc_u32_e32 v50, 0, v50
	v_add_co_u32 v6, s0, 0x800, v26
	v_add_co_ci_u32_e64 v7, s0, 0, v27, s0
	v_add_co_u32 v10, s0, 0x1000, v26
	v_add_co_ci_u32_e64 v11, s0, 0, v27, s0
	;; [unrolled: 2-line block ×11, first 2 shown]
	s_clause 0xb
	global_load_dwordx4 v[2:5], v[26:27], off
	global_load_dwordx4 v[6:9], v[6:7], off offset:672
	global_load_dwordx4 v[10:13], v[10:11], off offset:1344
	;; [unrolled: 1-line block ×11, first 2 shown]
	s_waitcnt vmcnt(11)
	ds_write_b128 v50, v[2:5]
	s_waitcnt vmcnt(10)
	ds_write_b128 v50, v[6:9] offset:2720
	s_waitcnt vmcnt(9)
	ds_write_b128 v50, v[10:13] offset:5440
	;; [unrolled: 2-line block ×11, first 2 shown]
	v_cmpx_eq_u32_e32 0xa9, v90
	s_cbranch_execz .LBB0_14
; %bb.13:
	v_add_co_u32 v0, s0, 0x7800, v0
	v_add_co_ci_u32_e64 v1, s0, 0, v1, s0
	v_mov_b32_e32 v4, 0
	v_mov_b32_e32 v90, 0xa9
	global_load_dwordx4 v[0:3], v[0:1], off offset:1920
	s_waitcnt vmcnt(0)
	ds_write_b128 v4, v[0:3] offset:32640
.LBB0_14:
	s_or_b32 exec_lo, exec_lo, s4
.LBB0_15:
	s_or_b32 exec_lo, exec_lo, s1
	v_lshlrev_b32_e32 v0, 4, v90
	s_waitcnt lgkmcnt(0)
	s_barrier
	buffer_gl0_inv
	s_add_u32 s1, s12, 0x7e70
	v_add_nc_u32_e32 v228, 0, v0
	v_sub_nc_u32_e32 v8, 0, v0
	s_addc_u32 s4, s13, 0
	s_mov_b32 s5, exec_lo
	ds_read_b64 v[4:5], v228
	ds_read_b64 v[6:7], v8 offset:32640
	s_waitcnt lgkmcnt(0)
	v_add_f64 v[0:1], v[4:5], v[6:7]
	v_add_f64 v[2:3], v[4:5], -v[6:7]
	v_cmpx_ne_u32_e32 0, v90
	s_xor_b32 s5, exec_lo, s5
	s_cbranch_execz .LBB0_17
; %bb.16:
	v_mov_b32_e32 v91, 0
	v_add_f64 v[13:14], v[4:5], v[6:7]
	v_add_f64 v[15:16], v[4:5], -v[6:7]
	v_lshlrev_b64 v[0:1], 4, v[90:91]
	v_add_co_u32 v0, s0, s1, v0
	v_add_co_ci_u32_e64 v1, s0, s4, v1, s0
	global_load_dwordx4 v[9:12], v[0:1], off
	ds_read_b64 v[0:1], v8 offset:32648
	ds_read_b64 v[2:3], v228 offset:8
	s_waitcnt lgkmcnt(0)
	v_add_f64 v[4:5], v[0:1], v[2:3]
	v_add_f64 v[0:1], v[2:3], -v[0:1]
	s_waitcnt vmcnt(0)
	v_fma_f64 v[2:3], v[15:16], v[11:12], v[13:14]
	v_fma_f64 v[6:7], -v[15:16], v[11:12], v[13:14]
	v_fma_f64 v[13:14], v[4:5], v[11:12], -v[0:1]
	v_fma_f64 v[11:12], v[4:5], v[11:12], v[0:1]
	v_fma_f64 v[0:1], -v[4:5], v[9:10], v[2:3]
	v_fma_f64 v[4:5], v[4:5], v[9:10], v[6:7]
	v_fma_f64 v[6:7], v[15:16], v[9:10], v[13:14]
	;; [unrolled: 1-line block ×3, first 2 shown]
	ds_write_b128 v8, v[4:7] offset:32640
.LBB0_17:
	s_andn2_saveexec_b32 s0, s5
	s_cbranch_execz .LBB0_19
; %bb.18:
	v_mov_b32_e32 v9, 0
	ds_read_b128 v[4:7], v9 offset:16320
	s_waitcnt lgkmcnt(0)
	v_add_f64 v[4:5], v[4:5], v[4:5]
	v_mul_f64 v[6:7], v[6:7], -2.0
	ds_write_b128 v9, v[4:7] offset:16320
.LBB0_19:
	s_or_b32 exec_lo, exec_lo, s0
	v_add_nc_u32_e32 v94, 0xaa, v90
	v_mov_b32_e32 v95, 0
	v_add_nc_u32_e32 v96, 0x154, v90
	v_add_nc_u32_e32 v17, 0x2a8, v90
	ds_write_b128 v228, v[0:3]
	s_mov_b32 s8, 0x5d8e7cdc
	v_lshlrev_b64 v[4:5], 4, v[94:95]
	v_mov_b32_e32 v97, v95
	v_mov_b32_e32 v98, v95
	;; [unrolled: 1-line block ×3, first 2 shown]
	s_mov_b32 s9, 0xbfd71e95
	s_mov_b32 s6, 0x2a9d6da3
	v_add_co_u32 v4, s0, s1, v4
	v_add_co_ci_u32_e64 v5, s0, s4, v5, s0
	v_lshlrev_b64 v[9:10], 4, v[96:97]
	v_add_nc_u32_e32 v97, 0x1fe, v90
	v_lshlrev_b64 v[17:18], 4, v[17:18]
	global_load_dwordx4 v[4:7], v[4:5], off
	s_mov_b32 s7, 0xbfe58eea
	s_mov_b32 s14, 0x7c9e640b
	v_add_co_u32 v9, s0, s1, v9
	v_add_co_ci_u32_e64 v10, s0, s4, v10, s0
	v_lshlrev_b64 v[13:14], 4, v[97:98]
	s_mov_b32 s15, 0xbfeca52d
	s_mov_b32 s16, 0x75d4884
	global_load_dwordx4 v[9:12], v[9:10], off
	s_mov_b32 s17, 0x3fe7a5f6
	s_mov_b32 s18, 0x2b2883cd
	v_add_co_u32 v13, s0, s1, v13
	v_add_co_ci_u32_e64 v14, s0, s4, v14, s0
	v_add_co_u32 v21, s0, s1, v17
	v_add_co_ci_u32_e64 v22, s0, s4, v18, s0
	global_load_dwordx4 v[13:16], v[13:14], off
	ds_read_b128 v[0:3], v228 offset:2720
	ds_read_b128 v[17:20], v8 offset:29920
	s_mov_b32 s19, 0x3fdc86fa
	global_load_dwordx4 v[21:24], v[21:22], off
	s_mov_b32 s22, 0xeb564b22
	s_mov_b32 s23, 0xbfefdd0d
	;; [unrolled: 1-line block ×17, first 2 shown]
	s_waitcnt lgkmcnt(0)
	v_add_f64 v[25:26], v[0:1], v[17:18]
	v_add_f64 v[27:28], v[19:20], v[2:3]
	v_add_f64 v[29:30], v[0:1], -v[17:18]
	v_add_f64 v[0:1], v[2:3], -v[19:20]
	s_mov_b32 s35, 0xbfeb34fa
	s_mov_b32 s40, 0xacd6c6b4
	;; [unrolled: 1-line block ×19, first 2 shown]
	s_waitcnt vmcnt(3)
	v_fma_f64 v[2:3], v[29:30], v[6:7], v[25:26]
	v_fma_f64 v[17:18], v[27:28], v[6:7], v[0:1]
	v_fma_f64 v[19:20], -v[29:30], v[6:7], v[25:26]
	v_fma_f64 v[6:7], v[27:28], v[6:7], -v[0:1]
	v_fma_f64 v[0:1], -v[27:28], v[4:5], v[2:3]
	v_fma_f64 v[2:3], v[29:30], v[4:5], v[17:18]
	v_fma_f64 v[17:18], v[27:28], v[4:5], v[19:20]
	;; [unrolled: 1-line block ×3, first 2 shown]
	v_add_nc_u32_e32 v4, 0x352, v90
	v_mov_b32_e32 v5, v95
	ds_write_b128 v228, v[0:3] offset:2720
	ds_write_b128 v8, v[17:20] offset:29920
	v_lshlrev_b64 v[4:5], 4, v[4:5]
	v_add_co_u32 v25, s0, s1, v4
	v_add_co_ci_u32_e64 v26, s0, s4, v5, s0
	ds_read_b128 v[0:3], v228 offset:5440
	ds_read_b128 v[4:7], v8 offset:27200
	s_mov_b32 s4, 0x370991
	s_mov_b32 s5, 0x3fedd6d0
	global_load_dwordx4 v[17:20], v[25:26], off
	s_mov_b32 s1, exec_lo
	s_waitcnt lgkmcnt(0)
	v_add_f64 v[25:26], v[0:1], v[4:5]
	v_add_f64 v[27:28], v[6:7], v[2:3]
	v_add_f64 v[29:30], v[0:1], -v[4:5]
	v_add_f64 v[0:1], v[2:3], -v[6:7]
	s_waitcnt vmcnt(3)
	v_fma_f64 v[2:3], v[29:30], v[11:12], v[25:26]
	v_fma_f64 v[4:5], v[27:28], v[11:12], v[0:1]
	v_fma_f64 v[6:7], -v[29:30], v[11:12], v[25:26]
	v_fma_f64 v[11:12], v[27:28], v[11:12], -v[0:1]
	v_fma_f64 v[0:1], -v[27:28], v[9:10], v[2:3]
	v_fma_f64 v[2:3], v[29:30], v[9:10], v[4:5]
	v_fma_f64 v[4:5], v[27:28], v[9:10], v[6:7]
	v_fma_f64 v[6:7], v[29:30], v[9:10], v[11:12]
	ds_write_b128 v228, v[0:3] offset:5440
	ds_write_b128 v8, v[4:7] offset:27200
	ds_read_b128 v[0:3], v228 offset:8160
	ds_read_b128 v[4:7], v8 offset:24480
	s_waitcnt lgkmcnt(0)
	v_add_f64 v[9:10], v[0:1], v[4:5]
	v_add_f64 v[11:12], v[6:7], v[2:3]
	v_add_f64 v[25:26], v[0:1], -v[4:5]
	v_add_f64 v[0:1], v[2:3], -v[6:7]
	s_waitcnt vmcnt(2)
	v_fma_f64 v[2:3], v[25:26], v[15:16], v[9:10]
	v_fma_f64 v[4:5], v[11:12], v[15:16], v[0:1]
	v_fma_f64 v[6:7], -v[25:26], v[15:16], v[9:10]
	v_fma_f64 v[9:10], v[11:12], v[15:16], -v[0:1]
	v_fma_f64 v[0:1], -v[11:12], v[13:14], v[2:3]
	v_fma_f64 v[2:3], v[25:26], v[13:14], v[4:5]
	v_fma_f64 v[4:5], v[11:12], v[13:14], v[6:7]
	v_fma_f64 v[6:7], v[25:26], v[13:14], v[9:10]
	ds_write_b128 v228, v[0:3] offset:8160
	ds_write_b128 v8, v[4:7] offset:24480
	ds_read_b128 v[0:3], v228 offset:10880
	ds_read_b128 v[4:7], v8 offset:21760
	;; [unrolled: 18-line block ×3, first 2 shown]
	s_waitcnt lgkmcnt(0)
	v_add_f64 v[9:10], v[0:1], v[4:5]
	v_add_f64 v[11:12], v[6:7], v[2:3]
	v_add_f64 v[13:14], v[0:1], -v[4:5]
	v_add_f64 v[0:1], v[2:3], -v[6:7]
	s_waitcnt vmcnt(0)
	v_fma_f64 v[2:3], v[13:14], v[19:20], v[9:10]
	v_fma_f64 v[4:5], v[11:12], v[19:20], v[0:1]
	v_fma_f64 v[6:7], -v[13:14], v[19:20], v[9:10]
	v_fma_f64 v[9:10], v[11:12], v[19:20], -v[0:1]
	v_fma_f64 v[0:1], -v[11:12], v[17:18], v[2:3]
	v_fma_f64 v[2:3], v[13:14], v[17:18], v[4:5]
	v_fma_f64 v[4:5], v[11:12], v[17:18], v[6:7]
	;; [unrolled: 1-line block ×3, first 2 shown]
	ds_write_b128 v228, v[0:3] offset:13600
	ds_write_b128 v8, v[4:7] offset:19040
	s_waitcnt lgkmcnt(0)
	s_barrier
	buffer_gl0_inv
	s_barrier
	buffer_gl0_inv
	ds_read_b128 v[20:23], v228 offset:30720
	ds_read_b128 v[40:43], v228 offset:1920
	;; [unrolled: 1-line block ×3, first 2 shown]
	ds_read_b128 v[28:31], v228
	ds_read_b128 v[44:47], v228 offset:3840
	ds_read_b128 v[48:51], v228 offset:5760
	;; [unrolled: 1-line block ×3, first 2 shown]
	s_waitcnt lgkmcnt(5)
	v_add_f64 v[160:161], v[42:43], -v[22:23]
	v_add_f64 v[168:169], v[40:41], -v[20:21]
	v_add_f64 v[164:165], v[40:41], v[20:21]
	s_waitcnt lgkmcnt(2)
	v_add_f64 v[102:103], v[46:47], -v[26:27]
	v_add_f64 v[98:99], v[44:45], -v[24:25]
	s_waitcnt lgkmcnt(0)
	v_add_f64 v[110:111], v[50:51], -v[34:35]
	v_add_f64 v[100:101], v[44:45], v[24:25]
	v_add_f64 v[104:105], v[48:49], v[32:33]
	v_add_f64 v[108:109], v[48:49], -v[32:33]
	v_add_f64 v[170:171], v[42:43], v[22:23]
	v_add_f64 v[106:107], v[46:47], v[26:27]
	;; [unrolled: 1-line block ×3, first 2 shown]
	v_mul_f64 v[0:1], v[160:161], s[8:9]
	v_mul_f64 v[2:3], v[168:169], s[8:9]
	buffer_store_dword v0, off, s[60:63], 0 offset:32 ; 4-byte Folded Spill
	buffer_store_dword v1, off, s[60:63], 0 offset:36 ; 4-byte Folded Spill
	v_mul_f64 v[4:5], v[102:103], s[6:7]
	v_mul_f64 v[6:7], v[98:99], s[6:7]
	buffer_store_dword v2, off, s[60:63], 0 offset:40 ; 4-byte Folded Spill
	buffer_store_dword v3, off, s[60:63], 0 offset:44 ; 4-byte Folded Spill
	v_mul_f64 v[8:9], v[110:111], s[14:15]
	buffer_store_dword v4, off, s[60:63], 0 ; 4-byte Folded Spill
	buffer_store_dword v5, off, s[60:63], 0 offset:4 ; 4-byte Folded Spill
	buffer_store_dword v6, off, s[60:63], 0 offset:8 ; 4-byte Folded Spill
	;; [unrolled: 1-line block ×5, first 2 shown]
	v_mul_f64 v[212:213], v[160:161], s[6:7]
	v_mul_f64 v[214:215], v[168:169], s[6:7]
	;; [unrolled: 1-line block ×18, first 2 shown]
	v_fma_f64 v[16:17], v[106:107], s[38:39], -v[250:251]
	v_fma_f64 v[154:155], v[106:107], s[34:35], -v[196:197]
	v_fma_f64 v[0:1], v[164:165], s[4:5], v[0:1]
	v_fma_f64 v[2:3], v[170:171], s[4:5], -v[2:3]
	v_add_f64 v[0:1], v[28:29], v[0:1]
	v_fma_f64 v[4:5], v[100:101], s[16:17], v[4:5]
	v_fma_f64 v[6:7], v[106:107], s[16:17], -v[6:7]
	v_add_f64 v[2:3], v[30:31], v[2:3]
	v_add_f64 v[0:1], v[4:5], v[0:1]
	v_fma_f64 v[4:5], v[104:105], s[18:19], v[8:9]
	v_add_f64 v[2:3], v[6:7], v[2:3]
	v_mul_f64 v[6:7], v[102:103], s[22:23]
	v_mul_f64 v[8:9], v[98:99], s[22:23]
	v_add_f64 v[0:1], v[4:5], v[0:1]
	v_mul_f64 v[4:5], v[108:109], s[14:15]
	buffer_store_dword v4, off, s[60:63], 0 offset:24 ; 4-byte Folded Spill
	buffer_store_dword v5, off, s[60:63], 0 offset:28 ; 4-byte Folded Spill
	ds_read_b128 v[36:39], v228 offset:24960
	ds_read_b128 v[56:59], v228 offset:7680
	;; [unrolled: 1-line block ×4, first 2 shown]
	s_waitcnt lgkmcnt(2)
	v_add_f64 v[122:123], v[58:59], -v[38:39]
	v_add_f64 v[112:113], v[56:57], v[36:37]
	v_add_f64 v[114:115], v[56:57], -v[36:37]
	v_add_f64 v[124:125], v[58:59], v[38:39]
	s_waitcnt lgkmcnt(0)
	v_add_f64 v[126:127], v[66:67], -v[54:55]
	v_add_f64 v[118:119], v[64:65], v[52:53]
	v_add_f64 v[120:121], v[64:65], -v[52:53]
	v_add_f64 v[130:131], v[66:67], v[54:55]
	v_mul_f64 v[248:249], v[122:123], s[46:47]
	v_mul_f64 v[254:255], v[114:115], s[44:45]
	;; [unrolled: 1-line block ×9, first 2 shown]
	v_fma_f64 v[4:5], v[116:117], s[18:19], -v[4:5]
	v_add_f64 v[2:3], v[4:5], v[2:3]
	v_mul_f64 v[4:5], v[122:123], s[22:23]
	buffer_store_dword v4, off, s[60:63], 0 offset:48 ; 4-byte Folded Spill
	buffer_store_dword v5, off, s[60:63], 0 offset:52 ; 4-byte Folded Spill
	v_fma_f64 v[4:5], v[112:113], s[20:21], v[4:5]
	v_add_f64 v[0:1], v[4:5], v[0:1]
	v_mul_f64 v[4:5], v[114:115], s[22:23]
	buffer_store_dword v4, off, s[60:63], 0 offset:56 ; 4-byte Folded Spill
	buffer_store_dword v5, off, s[60:63], 0 offset:60 ; 4-byte Folded Spill
	v_fma_f64 v[4:5], v[124:125], s[20:21], -v[4:5]
	v_add_f64 v[2:3], v[4:5], v[2:3]
	v_mul_f64 v[4:5], v[126:127], s[26:27]
	buffer_store_dword v4, off, s[60:63], 0 offset:64 ; 4-byte Folded Spill
	buffer_store_dword v5, off, s[60:63], 0 offset:68 ; 4-byte Folded Spill
	v_fma_f64 v[4:5], v[118:119], s[24:25], v[4:5]
	v_add_f64 v[0:1], v[4:5], v[0:1]
	v_mul_f64 v[4:5], v[120:121], s[26:27]
	buffer_store_dword v4, off, s[60:63], 0 offset:72 ; 4-byte Folded Spill
	buffer_store_dword v5, off, s[60:63], 0 offset:76 ; 4-byte Folded Spill
	ds_read_b128 v[60:63], v228 offset:21120
	ds_read_b128 v[68:71], v228 offset:11520
	ds_read_b128 v[76:79], v228 offset:13440
	ds_read_b128 v[72:75], v228 offset:19200
	s_waitcnt lgkmcnt(2)
	v_add_f64 v[138:139], v[70:71], -v[62:63]
	v_add_f64 v[128:129], v[68:69], v[60:61]
	v_add_f64 v[132:133], v[68:69], -v[60:61]
	v_add_f64 v[140:141], v[70:71], v[62:63]
	s_waitcnt lgkmcnt(0)
	v_add_f64 v[146:147], v[78:79], -v[74:75]
	v_add_f64 v[134:135], v[76:77], v[72:73]
	v_add_f64 v[136:137], v[76:77], -v[72:73]
	v_add_f64 v[148:149], v[78:79], v[74:75]
	v_mul_f64 v[242:243], v[138:139], s[8:9]
	v_mul_f64 v[172:173], v[138:139], s[42:43]
	;; [unrolled: 1-line block ×10, first 2 shown]
	v_fma_f64 v[4:5], v[130:131], s[24:25], -v[4:5]
	v_add_f64 v[2:3], v[4:5], v[2:3]
	v_mul_f64 v[4:5], v[138:139], s[30:31]
	buffer_store_dword v4, off, s[60:63], 0 offset:80 ; 4-byte Folded Spill
	buffer_store_dword v5, off, s[60:63], 0 offset:84 ; 4-byte Folded Spill
	v_fma_f64 v[4:5], v[128:129], s[28:29], v[4:5]
	v_add_f64 v[0:1], v[4:5], v[0:1]
	v_mul_f64 v[4:5], v[132:133], s[30:31]
	buffer_store_dword v4, off, s[60:63], 0 offset:88 ; 4-byte Folded Spill
	buffer_store_dword v5, off, s[60:63], 0 offset:92 ; 4-byte Folded Spill
	v_fma_f64 v[4:5], v[140:141], s[28:29], -v[4:5]
	v_add_f64 v[2:3], v[4:5], v[2:3]
	v_mul_f64 v[4:5], v[146:147], s[42:43]
	buffer_store_dword v4, off, s[60:63], 0 offset:96 ; 4-byte Folded Spill
	buffer_store_dword v5, off, s[60:63], 0 offset:100 ; 4-byte Folded Spill
	v_fma_f64 v[4:5], v[134:135], s[34:35], v[4:5]
	v_add_f64 v[0:1], v[4:5], v[0:1]
	v_mul_f64 v[4:5], v[136:137], s[42:43]
	buffer_store_dword v4, off, s[60:63], 0 offset:104 ; 4-byte Folded Spill
	buffer_store_dword v5, off, s[60:63], 0 offset:108 ; 4-byte Folded Spill
	ds_read_b128 v[84:87], v228 offset:15360
	ds_read_b128 v[80:83], v228 offset:17280
	s_waitcnt lgkmcnt(0)
	v_add_f64 v[150:151], v[86:87], -v[82:83]
	v_add_f64 v[142:143], v[84:85], v[80:81]
	v_add_f64 v[144:145], v[84:85], -v[80:81]
	v_add_f64 v[152:153], v[86:87], v[82:83]
	v_mul_f64 v[234:235], v[150:151], s[42:43]
	v_mul_f64 v[158:159], v[150:151], s[50:51]
	;; [unrolled: 1-line block ×4, first 2 shown]
	v_fma_f64 v[4:5], v[148:149], s[34:35], -v[4:5]
	v_add_f64 v[2:3], v[4:5], v[2:3]
	v_mul_f64 v[4:5], v[150:151], s[40:41]
	buffer_store_dword v4, off, s[60:63], 0 offset:112 ; 4-byte Folded Spill
	buffer_store_dword v5, off, s[60:63], 0 offset:116 ; 4-byte Folded Spill
	v_fma_f64 v[4:5], v[142:143], s[38:39], v[4:5]
	v_add_f64 v[0:1], v[4:5], v[0:1]
	v_mul_f64 v[4:5], v[144:145], s[40:41]
	buffer_store_dword v4, off, s[60:63], 0 offset:136 ; 4-byte Folded Spill
	buffer_store_dword v5, off, s[60:63], 0 offset:140 ; 4-byte Folded Spill
	;; [unrolled: 1-line block ×6, first 2 shown]
	v_fma_f64 v[4:5], v[152:153], s[38:39], -v[4:5]
	v_fma_f64 v[6:7], v[100:101], s[20:21], v[6:7]
	v_fma_f64 v[8:9], v[106:107], s[20:21], -v[8:9]
	v_add_f64 v[2:3], v[4:5], v[2:3]
	v_fma_f64 v[4:5], v[164:165], s[16:17], v[212:213]
	v_add_f64 v[4:5], v[28:29], v[4:5]
	v_add_f64 v[4:5], v[6:7], v[4:5]
	v_fma_f64 v[6:7], v[170:171], s[16:17], -v[214:215]
	v_add_f64 v[6:7], v[30:31], v[6:7]
	v_add_f64 v[6:7], v[8:9], v[6:7]
	v_mul_f64 v[8:9], v[110:111], s[30:31]
	buffer_store_dword v8, off, s[60:63], 0 offset:128 ; 4-byte Folded Spill
	buffer_store_dword v9, off, s[60:63], 0 offset:132 ; 4-byte Folded Spill
	v_fma_f64 v[8:9], v[104:105], s[28:29], v[8:9]
	v_add_f64 v[4:5], v[8:9], v[4:5]
	v_mul_f64 v[8:9], v[108:109], s[30:31]
	buffer_store_dword v8, off, s[60:63], 0 offset:176 ; 4-byte Folded Spill
	buffer_store_dword v9, off, s[60:63], 0 offset:180 ; 4-byte Folded Spill
	v_fma_f64 v[8:9], v[116:117], s[28:29], -v[8:9]
	v_add_f64 v[6:7], v[8:9], v[6:7]
	v_mul_f64 v[8:9], v[122:123], s[40:41]
	buffer_store_dword v8, off, s[60:63], 0 offset:144 ; 4-byte Folded Spill
	buffer_store_dword v9, off, s[60:63], 0 offset:148 ; 4-byte Folded Spill
	v_fma_f64 v[8:9], v[112:113], s[38:39], v[8:9]
	v_add_f64 v[4:5], v[8:9], v[4:5]
	v_mul_f64 v[8:9], v[114:115], s[40:41]
	buffer_store_dword v8, off, s[60:63], 0 offset:208 ; 4-byte Folded Spill
	buffer_store_dword v9, off, s[60:63], 0 offset:212 ; 4-byte Folded Spill
	v_fma_f64 v[8:9], v[124:125], s[38:39], -v[8:9]
	;; [unrolled: 10-line block ×6, first 2 shown]
	v_add_f64 v[10:11], v[4:5], v[6:7]
	v_mul_f64 v[6:7], v[102:103], s[30:31]
	buffer_store_dword v6, off, s[60:63], 0 offset:160 ; 4-byte Folded Spill
	buffer_store_dword v7, off, s[60:63], 0 offset:164 ; 4-byte Folded Spill
	;; [unrolled: 1-line block ×4, first 2 shown]
	v_fma_f64 v[4:5], v[164:165], s[18:19], v[216:217]
	v_add_f64 v[4:5], v[28:29], v[4:5]
	v_fma_f64 v[6:7], v[100:101], s[28:29], v[6:7]
	v_fma_f64 v[12:13], v[106:107], s[28:29], -v[12:13]
	v_add_f64 v[4:5], v[6:7], v[4:5]
	v_fma_f64 v[6:7], v[170:171], s[18:19], -v[218:219]
	v_add_f64 v[6:7], v[30:31], v[6:7]
	v_add_f64 v[6:7], v[12:13], v[6:7]
	v_mul_f64 v[12:13], v[110:111], s[48:49]
	buffer_store_dword v12, off, s[60:63], 0 offset:224 ; 4-byte Folded Spill
	buffer_store_dword v13, off, s[60:63], 0 offset:228 ; 4-byte Folded Spill
	v_fma_f64 v[12:13], v[104:105], s[38:39], v[12:13]
	v_add_f64 v[4:5], v[12:13], v[4:5]
	v_fma_f64 v[12:13], v[116:117], s[38:39], -v[244:245]
	v_add_f64 v[6:7], v[12:13], v[6:7]
	v_mul_f64 v[12:13], v[122:123], s[44:45]
	buffer_store_dword v12, off, s[60:63], 0 offset:264 ; 4-byte Folded Spill
	buffer_store_dword v13, off, s[60:63], 0 offset:268 ; 4-byte Folded Spill
	;; [unrolled: 1-line block ×4, first 2 shown]
	s_waitcnt_vscnt null, 0x0
	s_barrier
	buffer_gl0_inv
	v_fma_f64 v[12:13], v[112:113], s[24:25], v[12:13]
	v_fma_f64 v[14:15], v[100:101], s[38:39], v[14:15]
	v_add_f64 v[4:5], v[12:13], v[4:5]
	v_fma_f64 v[12:13], v[124:125], s[24:25], -v[254:255]
	v_add_f64 v[6:7], v[12:13], v[6:7]
	v_fma_f64 v[12:13], v[118:119], s[16:17], v[240:241]
	v_add_f64 v[4:5], v[12:13], v[4:5]
	v_fma_f64 v[12:13], v[130:131], s[16:17], -v[180:181]
	v_add_f64 v[6:7], v[12:13], v[6:7]
	v_fma_f64 v[12:13], v[128:129], s[4:5], v[242:243]
	v_add_f64 v[4:5], v[12:13], v[4:5]
	v_fma_f64 v[12:13], v[140:141], s[4:5], -v[166:167]
	v_add_f64 v[6:7], v[12:13], v[6:7]
	v_fma_f64 v[12:13], v[134:135], s[20:21], v[236:237]
	v_add_f64 v[4:5], v[12:13], v[4:5]
	v_fma_f64 v[12:13], v[148:149], s[20:21], -v[156:157]
	v_add_f64 v[6:7], v[12:13], v[6:7]
	v_fma_f64 v[12:13], v[142:143], s[34:35], v[234:235]
	v_add_f64 v[4:5], v[12:13], v[4:5]
	v_fma_f64 v[12:13], v[152:153], s[34:35], -v[252:253]
	v_add_f64 v[6:7], v[12:13], v[6:7]
	v_fma_f64 v[12:13], v[164:165], s[20:21], v[220:221]
	v_add_f64 v[12:13], v[28:29], v[12:13]
	v_add_f64 v[12:13], v[14:15], v[12:13]
	v_fma_f64 v[14:15], v[170:171], s[20:21], -v[222:223]
	v_add_f64 v[14:15], v[30:31], v[14:15]
	v_add_f64 v[14:15], v[16:17], v[14:15]
	v_fma_f64 v[16:17], v[104:105], s[24:25], v[238:239]
	v_add_f64 v[12:13], v[16:17], v[12:13]
	v_fma_f64 v[16:17], v[116:117], s[24:25], -v[176:177]
	v_add_f64 v[14:15], v[16:17], v[14:15]
	v_fma_f64 v[16:17], v[112:113], s[4:5], v[248:249]
	v_add_f64 v[12:13], v[16:17], v[12:13]
	v_fma_f64 v[16:17], v[124:125], s[4:5], -v[182:183]
	;; [unrolled: 4-line block ×6, first 2 shown]
	v_add_f64 v[18:19], v[12:13], v[14:15]
	v_fma_f64 v[12:13], v[164:165], s[24:25], v[224:225]
	v_fma_f64 v[14:15], v[100:101], s[34:35], v[232:233]
	v_add_f64 v[12:13], v[28:29], v[12:13]
	v_add_f64 v[12:13], v[14:15], v[12:13]
	v_fma_f64 v[14:15], v[170:171], s[24:25], -v[226:227]
	v_add_f64 v[14:15], v[30:31], v[14:15]
	v_add_f64 v[14:15], v[154:155], v[14:15]
	v_fma_f64 v[154:155], v[104:105], s[16:17], v[246:247]
	v_add_f64 v[12:13], v[154:155], v[12:13]
	v_fma_f64 v[154:155], v[116:117], s[16:17], -v[198:199]
	v_add_f64 v[14:15], v[154:155], v[14:15]
	v_mul_f64 v[154:155], v[122:123], s[14:15]
	v_fma_f64 v[178:179], v[112:113], s[18:19], v[154:155]
	v_add_f64 v[12:13], v[178:179], v[12:13]
	v_fma_f64 v[178:179], v[124:125], s[18:19], -v[204:205]
	v_add_f64 v[14:15], v[178:179], v[14:15]
	v_mul_f64 v[178:179], v[126:127], s[40:41]
	;; [unrolled: 5-line block ×5, first 2 shown]
	v_fma_f64 v[202:203], v[142:143], s[28:29], v[190:191]
	v_add_f64 v[12:13], v[202:203], v[12:13]
	v_mul_f64 v[202:203], v[144:145], s[30:31]
	v_fma_f64 v[229:230], v[152:153], s[28:29], -v[202:203]
	v_add_f64 v[14:15], v[229:230], v[14:15]
	v_cmpx_gt_u32_e32 0x78, v90
	s_cbranch_execz .LBB0_21
; %bb.20:
	v_add_f64 v[40:41], v[28:29], v[40:41]
	v_add_f64 v[42:43], v[30:31], v[42:43]
	;; [unrolled: 1-line block ×4, first 2 shown]
	v_mul_f64 v[46:47], v[164:165], s[20:21]
	v_mul_f64 v[44:45], v[170:171], s[20:21]
	v_add_f64 v[40:41], v[40:41], v[48:49]
	v_add_f64 v[42:43], v[42:43], v[50:51]
	v_mul_f64 v[50:51], v[164:165], s[18:19]
	v_add_f64 v[46:47], v[46:47], -v[220:221]
	v_mul_f64 v[48:49], v[170:171], s[18:19]
	v_add_f64 v[44:45], v[222:223], v[44:45]
	v_add_f64 v[40:41], v[40:41], v[56:57]
	v_add_f64 v[42:43], v[42:43], v[58:59]
	s_clause 0x1
	buffer_load_dword v58, off, s[60:63], 0 offset:40
	buffer_load_dword v59, off, s[60:63], 0 offset:44
	v_mul_f64 v[56:57], v[170:171], s[4:5]
	v_add_f64 v[50:51], v[50:51], -v[216:217]
	v_add_f64 v[48:49], v[218:219], v[48:49]
	v_add_f64 v[46:47], v[28:29], v[46:47]
	;; [unrolled: 1-line block ×7, first 2 shown]
	v_mul_f64 v[70:71], v[164:165], s[4:5]
	v_add_f64 v[40:41], v[40:41], v[76:77]
	v_add_f64 v[42:43], v[42:43], v[78:79]
	;; [unrolled: 1-line block ×7, first 2 shown]
	s_clause 0x1
	buffer_load_dword v72, off, s[60:63], 0 offset:32
	buffer_load_dword v73, off, s[60:63], 0 offset:36
	v_add_f64 v[42:43], v[42:43], v[74:75]
	v_add_f64 v[40:41], v[40:41], v[60:61]
	v_mul_f64 v[60:61], v[160:161], s[42:43]
	v_add_f64 v[42:43], v[42:43], v[62:63]
	v_mul_f64 v[62:63], v[160:161], s[30:31]
	v_add_f64 v[40:41], v[40:41], v[52:53]
	v_fma_f64 v[66:67], v[164:165], s[34:35], v[60:61]
	v_add_f64 v[42:43], v[42:43], v[54:55]
	v_mul_f64 v[54:55], v[164:165], s[16:17]
	v_fma_f64 v[60:61], v[164:165], s[34:35], -v[60:61]
	v_fma_f64 v[68:69], v[164:165], s[28:29], v[62:63]
	v_fma_f64 v[62:63], v[164:165], s[28:29], -v[62:63]
	v_mul_f64 v[52:53], v[170:171], s[16:17]
	v_add_f64 v[36:37], v[40:41], v[36:37]
	v_mul_f64 v[40:41], v[170:171], s[24:25]
	v_add_f64 v[38:39], v[42:43], v[38:39]
	v_mul_f64 v[42:43], v[164:165], s[24:25]
	v_add_f64 v[54:55], v[54:55], -v[212:213]
	v_add_f64 v[66:67], v[28:29], v[66:67]
	v_add_f64 v[60:61], v[28:29], v[60:61]
	;; [unrolled: 1-line block ×5, first 2 shown]
	v_mul_f64 v[212:213], v[150:151], s[56:57]
	v_add_f64 v[32:33], v[36:37], v[32:33]
	v_mul_f64 v[36:37], v[170:171], s[28:29]
	v_add_f64 v[34:35], v[38:39], v[34:35]
	v_add_f64 v[42:43], v[42:43], -v[224:225]
	v_add_f64 v[40:41], v[226:227], v[40:41]
	v_add_f64 v[24:25], v[32:33], v[24:25]
	v_mul_f64 v[32:33], v[170:171], s[34:35]
	v_add_f64 v[26:27], v[34:35], v[26:27]
	v_fma_f64 v[38:39], v[168:169], s[54:55], v[36:37]
	v_add_f64 v[84:85], v[28:29], v[42:43]
	v_add_f64 v[42:43], v[28:29], v[50:51]
	v_fma_f64 v[36:37], v[168:169], s[30:31], v[36:37]
	v_add_f64 v[82:83], v[30:31], v[40:41]
	v_add_f64 v[40:41], v[30:31], v[48:49]
	v_mul_f64 v[48:49], v[116:117], s[34:35]
	v_add_f64 v[20:21], v[24:25], v[20:21]
	v_mul_f64 v[24:25], v[170:171], s[38:39]
	v_fma_f64 v[34:35], v[168:169], s[36:37], v[32:33]
	v_add_f64 v[22:23], v[26:27], v[22:23]
	v_add_f64 v[78:79], v[30:31], v[38:39]
	;; [unrolled: 1-line block ×3, first 2 shown]
	v_fma_f64 v[32:33], v[168:169], s[42:43], v[32:33]
	v_add_f64 v[80:81], v[30:31], v[36:37]
	v_add_f64 v[36:37], v[30:31], v[52:53]
	v_fma_f64 v[50:51], v[108:109], s[36:37], v[48:49]
	v_fma_f64 v[48:49], v[108:109], s[42:43], v[48:49]
	v_mul_f64 v[170:171], v[152:153], s[20:21]
	v_fma_f64 v[26:27], v[168:169], s[48:49], v[24:25]
	v_fma_f64 v[24:25], v[168:169], s[40:41], v[24:25]
	v_add_f64 v[74:75], v[30:31], v[34:35]
	v_add_f64 v[76:77], v[30:31], v[32:33]
	;; [unrolled: 1-line block ×3, first 2 shown]
	s_waitcnt vmcnt(2)
	v_add_f64 v[56:57], v[58:59], v[56:57]
	v_mul_f64 v[58:59], v[160:161], s[40:41]
	v_add_f64 v[32:33], v[30:31], v[56:57]
	v_fma_f64 v[64:65], v[164:165], s[38:39], v[58:59]
	v_fma_f64 v[58:59], v[164:165], s[38:39], -v[58:59]
	v_add_f64 v[64:65], v[28:29], v[64:65]
	v_add_f64 v[58:59], v[28:29], v[58:59]
	s_waitcnt vmcnt(0)
	v_add_f64 v[70:71], v[70:71], -v[72:73]
	v_add_f64 v[72:73], v[30:31], v[24:25]
	v_mul_f64 v[30:31], v[102:103], s[46:47]
	v_add_f64 v[34:35], v[28:29], v[70:71]
	v_mul_f64 v[28:29], v[106:107], s[4:5]
	v_fma_f64 v[24:25], v[98:99], s[8:9], v[28:29]
	v_fma_f64 v[28:29], v[98:99], s[46:47], v[28:29]
	v_add_f64 v[24:25], v[24:25], v[26:27]
	v_fma_f64 v[26:27], v[100:101], s[4:5], v[30:31]
	v_add_f64 v[28:29], v[28:29], v[72:73]
	v_fma_f64 v[30:31], v[100:101], s[4:5], -v[30:31]
	v_add_f64 v[24:25], v[50:51], v[24:25]
	v_mul_f64 v[50:51], v[110:111], s[42:43]
	v_add_f64 v[26:27], v[26:27], v[64:65]
	v_add_f64 v[30:31], v[30:31], v[58:59]
	;; [unrolled: 1-line block ×3, first 2 shown]
	v_fma_f64 v[52:53], v[104:105], s[34:35], v[50:51]
	v_fma_f64 v[48:49], v[104:105], s[34:35], -v[50:51]
	v_fma_f64 v[50:51], v[142:143], s[20:21], -v[212:213]
	v_add_f64 v[26:27], v[52:53], v[26:27]
	v_mul_f64 v[52:53], v[124:125], s[16:17]
	v_add_f64 v[30:31], v[48:49], v[30:31]
	v_fma_f64 v[54:55], v[114:115], s[6:7], v[52:53]
	v_fma_f64 v[48:49], v[114:115], s[50:51], v[52:53]
	v_add_f64 v[24:25], v[54:55], v[24:25]
	v_mul_f64 v[54:55], v[122:123], s[50:51]
	v_add_f64 v[28:29], v[48:49], v[28:29]
	v_fma_f64 v[56:57], v[112:113], s[16:17], v[54:55]
	v_fma_f64 v[48:49], v[112:113], s[16:17], -v[54:55]
	v_add_f64 v[26:27], v[56:57], v[26:27]
	v_mul_f64 v[56:57], v[130:131], s[28:29]
	v_add_f64 v[30:31], v[48:49], v[30:31]
	v_fma_f64 v[64:65], v[120:121], s[54:55], v[56:57]
	v_fma_f64 v[48:49], v[120:121], s[30:31], v[56:57]
	v_add_f64 v[24:25], v[64:65], v[24:25]
	v_mul_f64 v[64:65], v[126:127], s[30:31]
	v_add_f64 v[28:29], v[48:49], v[28:29]
	v_fma_f64 v[70:71], v[118:119], s[28:29], v[64:65]
	;; [unrolled: 10-line block ×3, first 2 shown]
	v_fma_f64 v[48:49], v[128:129], s[18:19], -v[86:87]
	v_add_f64 v[26:27], v[160:161], v[26:27]
	v_mul_f64 v[160:161], v[148:149], s[24:25]
	v_add_f64 v[30:31], v[48:49], v[30:31]
	v_fma_f64 v[164:165], v[136:137], s[44:45], v[160:161]
	v_fma_f64 v[48:49], v[136:137], s[26:27], v[160:161]
	v_mul_f64 v[160:161], v[138:139], s[6:7]
	v_add_f64 v[24:25], v[164:165], v[24:25]
	v_mul_f64 v[164:165], v[146:147], s[26:27]
	v_add_f64 v[28:29], v[48:49], v[28:29]
	v_fma_f64 v[48:49], v[134:135], s[24:25], -v[164:165]
	v_fma_f64 v[168:169], v[134:135], s[24:25], v[164:165]
	v_mul_f64 v[164:165], v[152:153], s[18:19]
	v_add_f64 v[48:49], v[48:49], v[30:31]
	v_fma_f64 v[30:31], v[144:145], s[56:57], v[170:171]
	v_add_f64 v[168:169], v[168:169], v[26:27]
	v_fma_f64 v[26:27], v[144:145], s[22:23], v[170:171]
	v_add_f64 v[30:31], v[30:31], v[28:29]
	v_add_f64 v[28:29], v[50:51], v[48:49]
	s_clause 0x9
	buffer_load_dword v50, off, s[60:63], 0 offset:8
	buffer_load_dword v51, off, s[60:63], 0 offset:12
	buffer_load_dword v52, off, s[60:63], 0
	buffer_load_dword v53, off, s[60:63], 0 offset:4
	buffer_load_dword v54, off, s[60:63], 0 offset:24
	;; [unrolled: 1-line block ×7, first 2 shown]
	v_mul_f64 v[48:49], v[106:107], s[16:17]
	s_clause 0x7
	buffer_load_dword v64, off, s[60:63], 0 offset:48
	buffer_load_dword v65, off, s[60:63], 0 offset:52
	;; [unrolled: 1-line block ×8, first 2 shown]
	v_add_f64 v[26:27], v[26:27], v[24:25]
	v_fma_f64 v[24:25], v[142:143], s[20:21], v[212:213]
	v_add_f64 v[24:25], v[24:25], v[168:169]
	s_waitcnt vmcnt(16)
	v_add_f64 v[48:49], v[50:51], v[48:49]
	v_mul_f64 v[50:51], v[100:101], s[16:17]
	v_add_f64 v[32:33], v[48:49], v[32:33]
	s_waitcnt vmcnt(14)
	v_add_f64 v[50:51], v[50:51], -v[52:53]
	v_mul_f64 v[52:53], v[116:117], s[18:19]
	v_mul_f64 v[48:49], v[128:129], s[28:29]
	v_add_f64 v[34:35], v[50:51], v[34:35]
	s_waitcnt vmcnt(12)
	v_add_f64 v[52:53], v[54:55], v[52:53]
	v_mul_f64 v[54:55], v[104:105], s[18:19]
	s_clause 0x1
	buffer_load_dword v50, off, s[60:63], 0 offset:80
	buffer_load_dword v51, off, s[60:63], 0 offset:84
	v_add_f64 v[32:33], v[52:53], v[32:33]
	s_waitcnt vmcnt(12)
	v_add_f64 v[54:55], v[54:55], -v[56:57]
	v_mul_f64 v[56:57], v[124:125], s[20:21]
	s_clause 0x1
	buffer_load_dword v52, off, s[60:63], 0 offset:104
	buffer_load_dword v53, off, s[60:63], 0 offset:108
	v_add_f64 v[34:35], v[54:55], v[34:35]
	s_waitcnt vmcnt(12)
	v_add_f64 v[56:57], v[58:59], v[56:57]
	s_clause 0x1
	buffer_load_dword v54, off, s[60:63], 0 offset:96
	buffer_load_dword v55, off, s[60:63], 0 offset:100
	v_mul_f64 v[58:59], v[112:113], s[20:21]
	v_add_f64 v[32:33], v[56:57], v[32:33]
	s_clause 0x1
	buffer_load_dword v56, off, s[60:63], 0 offset:136
	buffer_load_dword v57, off, s[60:63], 0 offset:140
	s_waitcnt vmcnt(14)
	v_add_f64 v[58:59], v[58:59], -v[64:65]
	v_mul_f64 v[64:65], v[130:131], s[24:25]
	v_add_f64 v[34:35], v[58:59], v[34:35]
	s_waitcnt vmcnt(12)
	v_add_f64 v[64:65], v[70:71], v[64:65]
	v_mul_f64 v[70:71], v[118:119], s[24:25]
	v_add_f64 v[32:33], v[64:65], v[32:33]
	s_waitcnt vmcnt(10)
	v_add_f64 v[70:71], v[70:71], -v[72:73]
	v_mul_f64 v[72:73], v[140:141], s[28:29]
	v_add_f64 v[34:35], v[70:71], v[34:35]
	s_waitcnt vmcnt(8)
	v_add_f64 v[72:73], v[86:87], v[72:73]
	v_add_f64 v[32:33], v[72:73], v[32:33]
	s_waitcnt vmcnt(6)
	v_add_f64 v[48:49], v[48:49], -v[50:51]
	v_mul_f64 v[50:51], v[148:149], s[34:35]
	v_add_f64 v[34:35], v[48:49], v[34:35]
	s_waitcnt vmcnt(4)
	v_add_f64 v[50:51], v[52:53], v[50:51]
	v_mul_f64 v[52:53], v[134:135], s[34:35]
	v_mul_f64 v[48:49], v[142:143], s[38:39]
	v_add_f64 v[32:33], v[50:51], v[32:33]
	s_waitcnt vmcnt(2)
	v_add_f64 v[52:53], v[52:53], -v[54:55]
	v_mul_f64 v[54:55], v[152:153], s[38:39]
	v_add_f64 v[50:51], v[52:53], v[34:35]
	s_waitcnt vmcnt(0)
	v_add_f64 v[54:55], v[56:57], v[54:55]
	s_clause 0x1
	buffer_load_dword v56, off, s[60:63], 0 offset:112
	buffer_load_dword v57, off, s[60:63], 0 offset:116
	v_add_f64 v[34:35], v[54:55], v[32:33]
	s_waitcnt vmcnt(0)
	v_add_f64 v[48:49], v[48:49], -v[56:57]
	v_add_f64 v[32:33], v[48:49], v[50:51]
	s_clause 0x9
	buffer_load_dword v50, off, s[60:63], 0 offset:152
	buffer_load_dword v51, off, s[60:63], 0 offset:156
	;; [unrolled: 1-line block ×10, first 2 shown]
	v_mul_f64 v[48:49], v[106:107], s[20:21]
	s_clause 0x7
	buffer_load_dword v64, off, s[60:63], 0 offset:144
	buffer_load_dword v65, off, s[60:63], 0 offset:148
	;; [unrolled: 1-line block ×8, first 2 shown]
	s_waitcnt vmcnt(16)
	v_add_f64 v[48:49], v[50:51], v[48:49]
	v_mul_f64 v[50:51], v[100:101], s[20:21]
	v_add_f64 v[36:37], v[48:49], v[36:37]
	s_waitcnt vmcnt(14)
	v_add_f64 v[50:51], v[50:51], -v[52:53]
	v_mul_f64 v[52:53], v[116:117], s[28:29]
	v_mul_f64 v[48:49], v[128:129], s[24:25]
	v_add_f64 v[38:39], v[50:51], v[38:39]
	s_waitcnt vmcnt(12)
	v_add_f64 v[52:53], v[54:55], v[52:53]
	v_mul_f64 v[54:55], v[104:105], s[28:29]
	s_clause 0x1
	buffer_load_dword v50, off, s[60:63], 0 offset:184
	buffer_load_dword v51, off, s[60:63], 0 offset:188
	v_add_f64 v[36:37], v[52:53], v[36:37]
	s_waitcnt vmcnt(12)
	v_add_f64 v[54:55], v[54:55], -v[56:57]
	v_mul_f64 v[56:57], v[124:125], s[38:39]
	s_clause 0x1
	buffer_load_dword v52, off, s[60:63], 0 offset:248
	buffer_load_dword v53, off, s[60:63], 0 offset:252
	v_add_f64 v[38:39], v[54:55], v[38:39]
	s_waitcnt vmcnt(12)
	v_add_f64 v[56:57], v[58:59], v[56:57]
	s_clause 0x1
	buffer_load_dword v54, off, s[60:63], 0 offset:192
	buffer_load_dword v55, off, s[60:63], 0 offset:196
	v_mul_f64 v[58:59], v[112:113], s[38:39]
	v_add_f64 v[36:37], v[56:57], v[36:37]
	s_clause 0x1
	buffer_load_dword v56, off, s[60:63], 0 offset:256
	buffer_load_dword v57, off, s[60:63], 0 offset:260
	s_waitcnt vmcnt(14)
	v_add_f64 v[58:59], v[58:59], -v[64:65]
	v_mul_f64 v[64:65], v[130:131], s[34:35]
	v_add_f64 v[38:39], v[58:59], v[38:39]
	s_waitcnt vmcnt(12)
	v_add_f64 v[64:65], v[70:71], v[64:65]
	v_mul_f64 v[70:71], v[118:119], s[34:35]
	v_mul_f64 v[58:59], v[104:105], s[38:39]
	v_add_f64 v[36:37], v[64:65], v[36:37]
	s_waitcnt vmcnt(10)
	v_add_f64 v[70:71], v[70:71], -v[72:73]
	v_mul_f64 v[72:73], v[140:141], s[24:25]
	v_add_f64 v[38:39], v[70:71], v[38:39]
	s_waitcnt vmcnt(8)
	v_add_f64 v[72:73], v[86:87], v[72:73]
	v_mul_f64 v[86:87], v[102:103], s[44:45]
	v_add_f64 v[36:37], v[72:73], v[36:37]
	v_mul_f64 v[72:73], v[140:141], s[4:5]
	;; [unrolled: 2-line block ×3, first 2 shown]
	s_waitcnt vmcnt(6)
	v_add_f64 v[48:49], v[48:49], -v[50:51]
	v_mul_f64 v[50:51], v[148:149], s[18:19]
	v_add_f64 v[38:39], v[48:49], v[38:39]
	s_waitcnt vmcnt(4)
	v_add_f64 v[50:51], v[52:53], v[50:51]
	v_mul_f64 v[52:53], v[134:135], s[18:19]
	v_mul_f64 v[48:49], v[142:143], s[4:5]
	v_add_f64 v[36:37], v[50:51], v[36:37]
	s_waitcnt vmcnt(2)
	v_add_f64 v[52:53], v[52:53], -v[54:55]
	v_mul_f64 v[54:55], v[152:153], s[4:5]
	v_add_f64 v[50:51], v[52:53], v[38:39]
	s_waitcnt vmcnt(0)
	v_add_f64 v[54:55], v[56:57], v[54:55]
	s_clause 0x1
	buffer_load_dword v56, off, s[60:63], 0 offset:200
	buffer_load_dword v57, off, s[60:63], 0 offset:204
	v_mul_f64 v[52:53], v[124:125], s[24:25]
	v_add_f64 v[38:39], v[54:55], v[36:37]
	v_mul_f64 v[54:55], v[100:101], s[28:29]
	v_add_f64 v[52:53], v[254:255], v[52:53]
	s_waitcnt vmcnt(0)
	v_add_f64 v[48:49], v[48:49], -v[56:57]
	v_add_f64 v[36:37], v[48:49], v[50:51]
	s_clause 0x7
	buffer_load_dword v50, off, s[60:63], 0 offset:272
	buffer_load_dword v51, off, s[60:63], 0 offset:276
	;; [unrolled: 1-line block ×8, first 2 shown]
	v_mul_f64 v[48:49], v[106:107], s[28:29]
	s_waitcnt vmcnt(6)
	v_add_f64 v[48:49], v[50:51], v[48:49]
	s_waitcnt vmcnt(4)
	v_add_f64 v[54:55], v[54:55], -v[56:57]
	s_waitcnt vmcnt(2)
	v_add_f64 v[58:59], v[58:59], -v[64:65]
	v_mul_f64 v[50:51], v[116:117], s[38:39]
	v_mul_f64 v[64:65], v[112:113], s[24:25]
	;; [unrolled: 1-line block ×3, first 2 shown]
	v_add_f64 v[40:41], v[48:49], v[40:41]
	v_add_f64 v[42:43], v[54:55], v[42:43]
	v_mul_f64 v[48:49], v[128:129], s[4:5]
	v_add_f64 v[50:51], v[244:245], v[50:51]
	s_waitcnt vmcnt(0)
	v_add_f64 v[64:65], v[64:65], -v[70:71]
	v_mul_f64 v[70:71], v[118:119], s[16:17]
	v_add_f64 v[56:57], v[180:181], v[56:57]
	v_mul_f64 v[54:55], v[152:153], s[34:35]
	v_add_f64 v[42:43], v[58:59], v[42:43]
	s_clause 0x1
	buffer_load_dword v58, off, s[60:63], 0 offset:232
	buffer_load_dword v59, off, s[60:63], 0 offset:236
	v_add_f64 v[40:41], v[50:51], v[40:41]
	v_add_f64 v[48:49], v[48:49], -v[242:243]
	v_add_f64 v[70:71], v[70:71], -v[240:241]
	v_mul_f64 v[50:51], v[148:149], s[20:21]
	v_add_f64 v[54:55], v[252:253], v[54:55]
	v_add_f64 v[42:43], v[64:65], v[42:43]
	v_mul_f64 v[64:65], v[112:113], s[4:5]
	v_add_f64 v[40:41], v[52:53], v[40:41]
	v_mul_f64 v[52:53], v[134:135], s[20:21]
	;; [unrolled: 2-line block ×3, first 2 shown]
	v_add_f64 v[42:43], v[70:71], v[42:43]
	v_add_f64 v[64:65], v[64:65], -v[248:249]
	v_add_f64 v[40:41], v[56:57], v[40:41]
	v_add_f64 v[52:53], v[52:53], -v[236:237]
	v_mul_f64 v[56:57], v[100:101], s[38:39]
	v_mul_f64 v[70:71], v[118:119], s[18:19]
	v_add_f64 v[42:43], v[48:49], v[42:43]
	v_mul_f64 v[48:49], v[142:143], s[34:35]
	v_add_f64 v[40:41], v[72:73], v[40:41]
	v_mul_f64 v[72:73], v[140:141], s[34:35]
	v_add_f64 v[70:71], v[70:71], -v[162:163]
	v_mul_f64 v[162:163], v[146:147], s[40:41]
	v_add_f64 v[48:49], v[48:49], -v[234:235]
	v_add_f64 v[40:41], v[50:51], v[40:41]
	v_add_f64 v[50:51], v[52:53], v[42:43]
	v_mul_f64 v[52:53], v[116:117], s[24:25]
	v_add_f64 v[72:73], v[192:193], v[72:73]
	v_add_f64 v[42:43], v[54:55], v[40:41]
	;; [unrolled: 1-line block ×3, first 2 shown]
	v_mul_f64 v[50:51], v[106:107], s[38:39]
	v_add_f64 v[52:53], v[176:177], v[52:53]
	v_mul_f64 v[54:55], v[124:125], s[4:5]
	v_mul_f64 v[48:49], v[130:131], s[18:19]
	v_add_f64 v[50:51], v[250:251], v[50:51]
	v_add_f64 v[54:55], v[182:183], v[54:55]
	;; [unrolled: 1-line block ×4, first 2 shown]
	v_mul_f64 v[50:51], v[128:129], s[34:35]
	v_add_f64 v[44:45], v[52:53], v[44:45]
	v_mul_f64 v[52:53], v[148:149], s[28:29]
	v_add_f64 v[50:51], v[50:51], -v[172:173]
	v_add_f64 v[44:45], v[54:55], v[44:45]
	v_add_f64 v[52:53], v[194:195], v[52:53]
	v_mul_f64 v[54:55], v[134:135], s[28:29]
	v_add_f64 v[44:45], v[48:49], v[44:45]
	v_mul_f64 v[48:49], v[152:153], s[16:17]
	v_add_f64 v[54:55], v[54:55], -v[174:175]
	v_add_f64 v[44:45], v[72:73], v[44:45]
	v_add_f64 v[48:49], v[188:189], v[48:49]
	v_mul_f64 v[72:73], v[124:125], s[34:35]
	v_add_f64 v[44:45], v[52:53], v[44:45]
	s_waitcnt vmcnt(0)
	v_add_f64 v[56:57], v[56:57], -v[58:59]
	v_mul_f64 v[58:59], v[104:105], s[24:25]
	v_add_f64 v[46:47], v[56:57], v[46:47]
	v_add_f64 v[58:59], v[58:59], -v[238:239]
	v_mul_f64 v[56:57], v[112:113], s[18:19]
	v_add_f64 v[46:47], v[58:59], v[46:47]
	;; [unrolled: 3-line block ×3, first 2 shown]
	v_mul_f64 v[64:65], v[106:107], s[24:25]
	v_add_f64 v[46:47], v[70:71], v[46:47]
	v_mul_f64 v[70:71], v[116:117], s[4:5]
	v_add_f64 v[46:47], v[50:51], v[46:47]
	;; [unrolled: 2-line block ×3, first 2 shown]
	v_add_f64 v[50:51], v[50:51], -v[158:159]
	v_add_f64 v[46:47], v[48:49], v[44:45]
	v_mul_f64 v[48:49], v[106:107], s[34:35]
	v_mul_f64 v[54:55], v[104:105], s[16:17]
	;; [unrolled: 1-line block ×3, first 2 shown]
	v_add_f64 v[44:45], v[50:51], v[52:53]
	v_mul_f64 v[50:51], v[116:117], s[16:17]
	v_add_f64 v[48:49], v[196:197], v[48:49]
	v_mul_f64 v[52:53], v[124:125], s[18:19]
	v_add_f64 v[54:55], v[54:55], -v[246:247]
	v_add_f64 v[50:51], v[198:199], v[50:51]
	v_add_f64 v[48:49], v[48:49], v[82:83]
	;; [unrolled: 1-line block ×3, first 2 shown]
	v_mul_f64 v[82:83], v[140:141], s[16:17]
	v_add_f64 v[48:49], v[50:51], v[48:49]
	v_mul_f64 v[50:51], v[130:131], s[38:39]
	v_add_f64 v[48:49], v[52:53], v[48:49]
	v_add_f64 v[50:51], v[208:209], v[50:51]
	v_mul_f64 v[52:53], v[140:141], s[20:21]
	v_add_f64 v[48:49], v[50:51], v[48:49]
	v_mul_f64 v[50:51], v[100:101], s[34:35]
	v_add_f64 v[52:53], v[210:211], v[52:53]
	v_add_f64 v[50:51], v[50:51], -v[232:233]
	v_add_f64 v[48:49], v[52:53], v[48:49]
	v_mul_f64 v[52:53], v[134:135], s[4:5]
	v_add_f64 v[50:51], v[50:51], v[84:85]
	v_mul_f64 v[84:85], v[148:149], s[38:39]
	v_add_f64 v[52:53], v[52:53], -v[186:187]
	v_add_f64 v[50:51], v[54:55], v[50:51]
	v_mul_f64 v[54:55], v[118:119], s[38:39]
	v_add_f64 v[50:51], v[56:57], v[50:51]
	v_add_f64 v[54:55], v[54:55], -v[178:179]
	v_mul_f64 v[56:57], v[128:129], s[20:21]
	v_add_f64 v[50:51], v[54:55], v[50:51]
	v_mul_f64 v[54:55], v[148:149], s[4:5]
	v_add_f64 v[56:57], v[56:57], -v[184:185]
	v_add_f64 v[54:55], v[200:201], v[54:55]
	v_add_f64 v[50:51], v[56:57], v[50:51]
	v_mul_f64 v[56:57], v[152:153], s[28:29]
	v_add_f64 v[48:49], v[54:55], v[48:49]
	v_mul_f64 v[54:55], v[142:143], s[28:29]
	v_add_f64 v[56:57], v[202:203], v[56:57]
	v_add_f64 v[52:53], v[52:53], v[50:51]
	v_add_f64 v[54:55], v[54:55], -v[190:191]
	v_add_f64 v[50:51], v[56:57], v[48:49]
	v_fma_f64 v[56:57], v[104:105], s[4:5], -v[154:155]
	v_add_f64 v[48:49], v[54:55], v[52:53]
	v_fma_f64 v[52:53], v[98:99], s[44:45], v[64:65]
	v_fma_f64 v[54:55], v[108:109], s[8:9], v[70:71]
	;; [unrolled: 1-line block ×4, first 2 shown]
	v_add_f64 v[52:53], v[52:53], v[80:81]
	v_mul_f64 v[80:81], v[130:131], s[20:21]
	v_add_f64 v[64:65], v[64:65], v[78:79]
	v_add_f64 v[52:53], v[54:55], v[52:53]
	v_fma_f64 v[54:55], v[114:115], s[42:43], v[72:73]
	v_fma_f64 v[72:73], v[114:115], s[36:37], v[72:73]
	v_add_f64 v[64:65], v[70:71], v[64:65]
	v_fma_f64 v[70:71], v[120:121], s[22:23], v[80:81]
	v_add_f64 v[52:53], v[54:55], v[52:53]
	v_fma_f64 v[54:55], v[120:121], s[56:57], v[80:81]
	v_add_f64 v[64:65], v[72:73], v[64:65]
	v_fma_f64 v[72:73], v[132:133], s[50:51], v[82:83]
	v_add_f64 v[52:53], v[54:55], v[52:53]
	v_fma_f64 v[54:55], v[132:133], s[6:7], v[82:83]
	v_add_f64 v[64:65], v[70:71], v[64:65]
	v_fma_f64 v[70:71], v[136:137], s[48:49], v[84:85]
	v_add_f64 v[52:53], v[54:55], v[52:53]
	v_fma_f64 v[54:55], v[136:137], s[40:41], v[84:85]
	v_add_f64 v[64:65], v[72:73], v[64:65]
	v_fma_f64 v[72:73], v[144:145], s[14:15], v[164:165]
	v_add_f64 v[52:53], v[54:55], v[52:53]
	v_fma_f64 v[54:55], v[100:101], s[24:25], -v[86:87]
	v_add_f64 v[64:65], v[70:71], v[64:65]
	v_fma_f64 v[70:71], v[142:143], s[18:19], v[166:167]
	v_add_f64 v[54:55], v[54:55], v[62:63]
	v_mul_f64 v[62:63], v[106:107], s[18:19]
	v_add_f64 v[54:55], v[56:57], v[54:55]
	v_fma_f64 v[56:57], v[112:113], s[34:35], -v[156:157]
	v_add_f64 v[54:55], v[56:57], v[54:55]
	v_fma_f64 v[56:57], v[118:119], s[20:21], -v[158:159]
	;; [unrolled: 2-line block ×4, first 2 shown]
	v_add_f64 v[56:57], v[56:57], v[54:55]
	v_fma_f64 v[54:55], v[144:145], s[52:53], v[164:165]
	v_add_f64 v[54:55], v[54:55], v[52:53]
	v_fma_f64 v[52:53], v[142:143], s[18:19], -v[166:167]
	v_add_f64 v[52:53], v[52:53], v[56:57]
	v_fma_f64 v[56:57], v[98:99], s[52:53], v[62:63]
	v_fma_f64 v[62:63], v[98:99], s[14:15], v[62:63]
	v_add_f64 v[56:57], v[56:57], v[76:77]
	v_mul_f64 v[76:77], v[102:103], s[52:53]
	v_add_f64 v[62:63], v[62:63], v[74:75]
	v_fma_f64 v[58:59], v[100:101], s[18:19], -v[76:77]
	v_fma_f64 v[74:75], v[100:101], s[18:19], v[76:77]
	v_add_f64 v[58:59], v[58:59], v[60:61]
	v_mul_f64 v[60:61], v[116:117], s[20:21]
	v_add_f64 v[66:67], v[74:75], v[66:67]
	v_fma_f64 v[102:103], v[108:109], s[22:23], v[60:61]
	v_fma_f64 v[60:61], v[108:109], s[56:57], v[60:61]
	v_add_f64 v[56:57], v[102:103], v[56:57]
	v_mul_f64 v[102:103], v[110:111], s[22:23]
	v_add_f64 v[60:61], v[60:61], v[62:63]
	v_fma_f64 v[106:107], v[104:105], s[20:21], -v[102:103]
	v_fma_f64 v[62:63], v[104:105], s[20:21], v[102:103]
	v_add_f64 v[58:59], v[106:107], v[58:59]
	v_mul_f64 v[106:107], v[124:125], s[28:29]
	;; [unrolled: 10-line block ×5, first 2 shown]
	v_add_f64 v[62:63], v[66:67], v[62:63]
	v_mul_f64 v[148:149], v[150:151], s[26:27]
	v_fma_f64 v[138:139], v[136:137], s[50:51], v[130:131]
	v_fma_f64 v[66:67], v[136:137], s[6:7], v[130:131]
	;; [unrolled: 1-line block ×3, first 2 shown]
	v_add_f64 v[56:57], v[138:139], v[56:57]
	v_mul_f64 v[138:139], v[146:147], s[50:51]
	v_mul_f64 v[146:147], v[152:153], s[24:25]
	v_add_f64 v[60:61], v[66:67], v[60:61]
	v_fma_f64 v[66:67], v[134:135], s[16:17], v[138:139]
	v_fma_f64 v[140:141], v[134:135], s[16:17], -v[138:139]
	v_add_f64 v[66:67], v[66:67], v[62:63]
	v_fma_f64 v[62:63], v[144:145], s[44:45], v[146:147]
	v_add_f64 v[140:141], v[140:141], v[58:59]
	v_fma_f64 v[58:59], v[144:145], s[26:27], v[146:147]
	v_add_f64 v[62:63], v[62:63], v[60:61]
	v_add_f64 v[60:61], v[74:75], v[66:67]
	v_fma_f64 v[66:67], v[100:101], s[24:25], v[86:87]
	v_add_f64 v[58:59], v[58:59], v[56:57]
	v_fma_f64 v[56:57], v[142:143], s[24:25], -v[148:149]
	v_add_f64 v[66:67], v[66:67], v[68:69]
	v_fma_f64 v[68:69], v[104:105], s[4:5], v[154:155]
	v_add_f64 v[56:57], v[56:57], v[140:141]
	v_add_f64 v[66:67], v[68:69], v[66:67]
	v_fma_f64 v[68:69], v[112:113], s[34:35], v[156:157]
	v_add_f64 v[66:67], v[68:69], v[66:67]
	v_fma_f64 v[68:69], v[118:119], s[20:21], v[158:159]
	;; [unrolled: 2-line block ×4, first 2 shown]
	v_add_f64 v[68:69], v[68:69], v[66:67]
	v_add_f64 v[66:67], v[72:73], v[64:65]
	;; [unrolled: 1-line block ×3, first 2 shown]
	v_lshl_add_u32 v68, v90, 8, v228
	ds_write_b128 v68, v[20:23]
	ds_write_b128 v68, v[32:35] offset:16
	ds_write_b128 v68, v[36:39] offset:32
	;; [unrolled: 1-line block ×16, first 2 shown]
.LBB0_21:
	s_or_b32 exec_lo, exec_lo, s1
	v_and_b32_e32 v87, 0xff, v90
	v_mov_b32_e32 v23, 0xf0f1
	v_mov_b32_e32 v35, 3
	s_waitcnt lgkmcnt(0)
	s_barrier
	v_mul_lo_u16 v20, 0xf1, v87
	v_mul_u32_u24_sdwa v22, v94, v23 dst_sel:DWORD dst_unused:UNUSED_PAD src0_sel:WORD_0 src1_sel:DWORD
	v_mul_u32_u24_sdwa v91, v96, v23 dst_sel:DWORD dst_unused:UNUSED_PAD src0_sel:WORD_0 src1_sel:DWORD
	buffer_gl0_inv
	v_mul_u32_u24_sdwa v23, v97, v23 dst_sel:DWORD dst_unused:UNUSED_PAD src0_sel:WORD_0 src1_sel:DWORD
	v_lshrrev_b16 v20, 12, v20
	v_lshrrev_b32_e32 v21, 20, v22
	v_lshrrev_b32_e32 v95, 20, v91
	;; [unrolled: 1-line block ×3, first 2 shown]
	s_mov_b32 s0, 0xe8584caa
	v_mul_lo_u16 v24, v20, 17
	v_mul_lo_u16 v25, v21, 17
	;; [unrolled: 1-line block ×3, first 2 shown]
	s_mov_b32 s1, 0x3febb67a
	s_mov_b32 s5, 0xbfebb67a
	v_sub_nc_u16 v24, v90, v24
	v_sub_nc_u16 v25, v94, v25
	s_mov_b32 s4, s0
	v_mul_u32_u24_sdwa v26, v24, v35 dst_sel:DWORD dst_unused:UNUSED_PAD src0_sel:BYTE_0 src1_sel:DWORD
	v_mul_u32_u24_sdwa v37, v25, v35 dst_sel:DWORD dst_unused:UNUSED_PAD src0_sel:WORD_0 src1_sel:DWORD
	v_lshlrev_b32_e32 v36, 4, v26
	v_sub_nc_u16 v26, v96, v27
	v_lshlrev_b32_e32 v47, 4, v37
	s_clause 0x1
	global_load_dwordx4 v[27:30], v36, s[12:13] offset:16
	global_load_dwordx4 v[31:34], v36, s[12:13]
	v_mul_u32_u24_sdwa v43, v26, v35 dst_sel:DWORD dst_unused:UNUSED_PAD src0_sel:WORD_0 src1_sel:DWORD
	s_clause 0x1
	global_load_dwordx4 v[35:38], v36, s[12:13] offset:32
	global_load_dwordx4 v[39:42], v47, s[12:13]
	v_lshlrev_b32_e32 v59, 4, v43
	s_clause 0x4
	global_load_dwordx4 v[43:46], v47, s[12:13] offset:16
	global_load_dwordx4 v[47:50], v47, s[12:13] offset:32
	global_load_dwordx4 v[51:54], v59, s[12:13]
	global_load_dwordx4 v[55:58], v59, s[12:13] offset:16
	global_load_dwordx4 v[59:62], v59, s[12:13] offset:32
	ds_read_b128 v[63:66], v228 offset:8160
	ds_read_b128 v[67:70], v228 offset:16320
	;; [unrolled: 1-line block ×10, first 2 shown]
	ds_read_b128 v[114:117], v228
	ds_read_b128 v[118:121], v228 offset:2720
	s_waitcnt vmcnt(0) lgkmcnt(0)
	s_barrier
	buffer_gl0_inv
	v_mul_f64 v[124:125], v[69:70], v[29:30]
	v_mul_f64 v[122:123], v[65:66], v[33:34]
	;; [unrolled: 1-line block ×18, first 2 shown]
	v_fma_f64 v[63:64], v[63:64], v[31:32], -v[122:123]
	v_fma_f64 v[31:32], v[65:66], v[31:32], v[33:34]
	v_fma_f64 v[33:34], v[67:68], v[27:28], -v[124:125]
	v_fma_f64 v[27:28], v[69:70], v[27:28], v[29:30]
	;; [unrolled: 2-line block ×9, first 2 shown]
	v_mov_b32_e32 v81, 0x440
	v_lshrrev_b32_e32 v108, 22, v22
	v_mov_b32_e32 v109, 4
	v_mov_b32_e32 v82, 5
	v_mul_lo_u16 v83, 0x44, v91
	v_mul_u32_u24_e32 v91, 0xcc0, v91
	v_add_f64 v[61:62], v[114:115], -v[33:34]
	v_add_f64 v[65:66], v[116:117], -v[27:28]
	;; [unrolled: 1-line block ×4, first 2 shown]
	v_lshlrev_b32_sdwa v24, v109, v24 dst_sel:DWORD dst_unused:UNUSED_PAD src0_sel:DWORD src1_sel:BYTE_0
	v_lshlrev_b32_sdwa v25, v109, v25 dst_sel:DWORD dst_unused:UNUSED_PAD src0_sel:DWORD src1_sel:WORD_0
	v_add_f64 v[67:68], v[118:119], -v[41:42]
	v_add_f64 v[69:70], v[120:121], -v[43:44]
	;; [unrolled: 1-line block ×4, first 2 shown]
	v_lshlrev_b32_sdwa v26, v109, v26 dst_sel:DWORD dst_unused:UNUSED_PAD src0_sel:DWORD src1_sel:WORD_0
	v_add_f64 v[71:72], v[110:111], -v[53:54]
	v_add_f64 v[73:74], v[112:113], -v[55:56]
	;; [unrolled: 1-line block ×4, first 2 shown]
	v_fma_f64 v[53:54], v[114:115], 2.0, -v[61:62]
	v_fma_f64 v[57:58], v[116:117], 2.0, -v[65:66]
	;; [unrolled: 1-line block ×4, first 2 shown]
	v_mul_lo_u16 v31, 0x79, v87
	v_add_f64 v[27:28], v[61:62], -v[27:28]
	v_fma_f64 v[59:60], v[118:119], 2.0, -v[67:68]
	v_fma_f64 v[63:64], v[120:121], 2.0, -v[69:70]
	;; [unrolled: 1-line block ×4, first 2 shown]
	v_add_f64 v[29:30], v[65:66], v[29:30]
	v_lshrrev_b16 v107, 13, v31
	v_fma_f64 v[77:78], v[110:111], 2.0, -v[71:72]
	v_fma_f64 v[79:80], v[112:113], 2.0, -v[73:74]
	;; [unrolled: 1-line block ×4, first 2 shown]
	v_add_f64 v[31:32], v[67:68], -v[35:36]
	v_add_f64 v[33:34], v[69:70], v[33:34]
	v_add_f64 v[43:44], v[71:72], -v[43:44]
	v_add_f64 v[45:46], v[73:74], v[45:46]
	v_lshrrev_b32_e32 v110, 22, v23
	v_sub_nc_u16 v113, v96, v83
	v_mov_b32_e32 v115, 0xcc0
	v_mul_u32_u24_e32 v116, 0xcc0, v108
	v_add_f64 v[35:36], v[53:54], -v[41:42]
	v_add_f64 v[37:38], v[57:58], -v[47:48]
	v_mul_lo_u16 v84, 0x44, v110
	v_mul_u32_u24_sdwa v115, v107, v115 dst_sel:DWORD dst_unused:UNUSED_PAD src0_sel:WORD_0 src1_sel:DWORD
	v_mul_u32_u24_e32 v110, 0xcc0, v110
	v_add_f64 v[39:40], v[59:60], -v[55:56]
	v_add_f64 v[41:42], v[63:64], -v[75:76]
	v_mul_u32_u24_sdwa v75, v20, v81 dst_sel:DWORD dst_unused:UNUSED_PAD src0_sel:WORD_0 src1_sel:DWORD
	v_mul_u32_u24_e32 v76, 0x440, v21
	v_mul_lo_u16 v20, 0x44, v107
	v_mul_lo_u16 v21, 0x44, v108
	v_add_f64 v[47:48], v[77:78], -v[49:50]
	v_add_f64 v[49:50], v[79:80], -v[51:52]
	v_fma_f64 v[22:23], v[65:66], 2.0, -v[29:30]
	v_sub_nc_u16 v111, v90, v20
	v_sub_nc_u16 v112, v94, v21
	v_fma_f64 v[20:21], v[61:62], 2.0, -v[27:28]
	v_fma_f64 v[51:52], v[67:68], 2.0, -v[31:32]
	;; [unrolled: 1-line block ×3, first 2 shown]
	v_mul_u32_u24_e32 v81, 0x440, v95
	v_add3_u32 v24, 0, v75, v24
	v_fma_f64 v[55:56], v[53:54], 2.0, -v[35:36]
	v_fma_f64 v[57:58], v[57:58], 2.0, -v[37:38]
	;; [unrolled: 1-line block ×3, first 2 shown]
	v_add3_u32 v25, 0, v76, v25
	v_add3_u32 v26, 0, v81, v26
	v_sub_nc_u16 v114, v97, v84
	v_fma_f64 v[59:60], v[59:60], 2.0, -v[39:40]
	v_fma_f64 v[61:62], v[63:64], 2.0, -v[41:42]
	;; [unrolled: 1-line block ×3, first 2 shown]
	v_lshlrev_b32_sdwa v71, v82, v111 dst_sel:DWORD dst_unused:UNUSED_PAD src0_sel:DWORD src1_sel:BYTE_0
	v_lshlrev_b32_sdwa v72, v82, v112 dst_sel:DWORD dst_unused:UNUSED_PAD src0_sel:DWORD src1_sel:WORD_0
	v_lshlrev_b32_sdwa v111, v109, v111 dst_sel:DWORD dst_unused:UNUSED_PAD src0_sel:DWORD src1_sel:BYTE_0
	v_fma_f64 v[67:68], v[77:78], 2.0, -v[47:48]
	v_fma_f64 v[69:70], v[79:80], 2.0, -v[49:50]
	v_lshlrev_b32_sdwa v112, v109, v112 dst_sel:DWORD dst_unused:UNUSED_PAD src0_sel:DWORD src1_sel:WORD_0
	ds_write_b128 v24, v[27:30] offset:816
	ds_write_b128 v24, v[20:23] offset:272
	;; [unrolled: 1-line block ×3, first 2 shown]
	ds_write_b128 v24, v[55:58]
	ds_write_b128 v25, v[59:62]
	ds_write_b128 v25, v[51:54] offset:272
	ds_write_b128 v25, v[39:42] offset:544
	;; [unrolled: 1-line block ×3, first 2 shown]
	ds_write_b128 v26, v[67:70]
	ds_write_b128 v26, v[63:66] offset:272
	ds_write_b128 v26, v[47:50] offset:544
	ds_write_b128 v26, v[43:46] offset:816
	s_waitcnt lgkmcnt(0)
	s_barrier
	buffer_gl0_inv
	s_clause 0x1
	global_load_dwordx4 v[20:23], v71, s[12:13] offset:816
	global_load_dwordx4 v[24:27], v71, s[12:13] offset:832
	v_lshlrev_b32_sdwa v40, v82, v113 dst_sel:DWORD dst_unused:UNUSED_PAD src0_sel:DWORD src1_sel:WORD_0
	s_clause 0x1
	global_load_dwordx4 v[28:31], v72, s[12:13] offset:816
	global_load_dwordx4 v[32:35], v72, s[12:13] offset:832
	v_lshlrev_b32_sdwa v48, v82, v114 dst_sel:DWORD dst_unused:UNUSED_PAD src0_sel:DWORD src1_sel:WORD_0
	s_clause 0x3
	global_load_dwordx4 v[36:39], v40, s[12:13] offset:816
	global_load_dwordx4 v[40:43], v40, s[12:13] offset:832
	;; [unrolled: 1-line block ×4, first 2 shown]
	ds_read_b128 v[52:55], v228 offset:10880
	ds_read_b128 v[56:59], v228 offset:21760
	;; [unrolled: 1-line block ×8, first 2 shown]
	s_waitcnt vmcnt(7) lgkmcnt(7)
	v_mul_f64 v[84:85], v[54:55], v[22:23]
	v_mul_f64 v[22:23], v[52:53], v[22:23]
	s_waitcnt vmcnt(6) lgkmcnt(6)
	v_mul_f64 v[86:87], v[58:59], v[26:27]
	v_mul_f64 v[26:27], v[56:57], v[26:27]
	s_waitcnt vmcnt(5) lgkmcnt(5)
	v_mul_f64 v[95:96], v[62:63], v[30:31]
	v_mul_f64 v[30:31], v[60:61], v[30:31]
	s_waitcnt vmcnt(4) lgkmcnt(4)
	v_mul_f64 v[97:98], v[66:67], v[34:35]
	v_mul_f64 v[34:35], v[64:65], v[34:35]
	s_waitcnt vmcnt(3) lgkmcnt(3)
	v_mul_f64 v[99:100], v[70:71], v[38:39]
	v_mul_f64 v[38:39], v[68:69], v[38:39]
	s_waitcnt vmcnt(2) lgkmcnt(2)
	v_mul_f64 v[101:102], v[74:75], v[42:43]
	v_mul_f64 v[42:43], v[72:73], v[42:43]
	s_waitcnt vmcnt(1) lgkmcnt(1)
	v_mul_f64 v[103:104], v[78:79], v[46:47]
	s_waitcnt vmcnt(0) lgkmcnt(0)
	v_mul_f64 v[105:106], v[82:83], v[50:51]
	v_mul_f64 v[46:47], v[76:77], v[46:47]
	;; [unrolled: 1-line block ×3, first 2 shown]
	v_fma_f64 v[52:53], v[52:53], v[20:21], -v[84:85]
	v_fma_f64 v[54:55], v[54:55], v[20:21], v[22:23]
	v_fma_f64 v[56:57], v[56:57], v[24:25], -v[86:87]
	v_fma_f64 v[58:59], v[58:59], v[24:25], v[26:27]
	;; [unrolled: 2-line block ×6, first 2 shown]
	v_fma_f64 v[42:43], v[76:77], v[44:45], -v[103:104]
	v_fma_f64 v[70:71], v[80:81], v[48:49], -v[105:106]
	v_fma_f64 v[44:45], v[78:79], v[44:45], v[46:47]
	v_fma_f64 v[46:47], v[82:83], v[48:49], v[50:51]
	ds_read_b128 v[20:23], v228
	ds_read_b128 v[24:27], v228 offset:2720
	ds_read_b128 v[28:31], v228 offset:5440
	;; [unrolled: 1-line block ×3, first 2 shown]
	s_waitcnt lgkmcnt(0)
	s_barrier
	buffer_gl0_inv
	v_add_f64 v[48:49], v[52:53], v[56:57]
	v_add_f64 v[50:51], v[54:55], v[58:59]
	v_add_f64 v[82:83], v[54:55], -v[58:59]
	v_add_f64 v[72:73], v[60:61], v[64:65]
	v_add_f64 v[74:75], v[62:63], v[66:67]
	v_add_f64 v[76:77], v[68:69], v[38:39]
	v_add_f64 v[80:81], v[36:37], v[40:41]
	v_add_f64 v[84:85], v[42:43], v[70:71]
	v_add_f64 v[78:79], v[20:21], v[52:53]
	v_add_f64 v[86:87], v[44:45], v[46:47]
	v_add_f64 v[54:55], v[22:23], v[54:55]
	v_add_f64 v[52:53], v[52:53], -v[56:57]
	v_add_f64 v[105:106], v[34:35], v[44:45]
	v_add_f64 v[95:96], v[24:25], v[60:61]
	;; [unrolled: 1-line block ×3, first 2 shown]
	v_add_f64 v[62:63], v[62:63], -v[66:67]
	v_add_f64 v[60:61], v[60:61], -v[64:65]
	v_add_f64 v[99:100], v[28:29], v[68:69]
	v_fma_f64 v[20:21], v[48:49], -0.5, v[20:21]
	v_fma_f64 v[22:23], v[50:51], -0.5, v[22:23]
	v_add_f64 v[101:102], v[30:31], v[36:37]
	v_add_f64 v[68:69], v[68:69], -v[38:39]
	v_fma_f64 v[24:25], v[72:73], -0.5, v[24:25]
	v_fma_f64 v[26:27], v[74:75], -0.5, v[26:27]
	v_add_f64 v[72:73], v[36:37], -v[40:41]
	v_add_f64 v[103:104], v[32:33], v[42:43]
	v_fma_f64 v[74:75], v[76:77], -0.5, v[28:29]
	v_fma_f64 v[80:81], v[80:81], -0.5, v[30:31]
	v_add_f64 v[76:77], v[44:45], -v[46:47]
	v_add_f64 v[107:108], v[42:43], -v[70:71]
	v_fma_f64 v[84:85], v[84:85], -0.5, v[32:33]
	v_add_f64 v[28:29], v[78:79], v[56:57]
	v_fma_f64 v[78:79], v[86:87], -0.5, v[34:35]
	v_add_f64 v[30:31], v[54:55], v[58:59]
	v_add_f64 v[42:43], v[105:106], v[46:47]
	;; [unrolled: 1-line block ×5, first 2 shown]
	v_fma_f64 v[44:45], v[82:83], s[0:1], v[20:21]
	v_fma_f64 v[46:47], v[52:53], s[4:5], v[22:23]
	;; [unrolled: 1-line block ×8, first 2 shown]
	v_add_f64 v[38:39], v[101:102], v[40:41]
	v_fma_f64 v[60:61], v[72:73], s[0:1], v[74:75]
	v_fma_f64 v[62:63], v[68:69], s[4:5], v[80:81]
	;; [unrolled: 1-line block ×4, first 2 shown]
	v_add_f64 v[40:41], v[103:104], v[70:71]
	v_fma_f64 v[20:21], v[76:77], s[0:1], v[84:85]
	v_fma_f64 v[22:23], v[107:108], s[4:5], v[78:79]
	v_fma_f64 v[24:25], v[76:77], s[4:5], v[84:85]
	v_fma_f64 v[26:27], v[107:108], s[0:1], v[78:79]
	v_lshlrev_b32_sdwa v68, v109, v113 dst_sel:DWORD dst_unused:UNUSED_PAD src0_sel:DWORD src1_sel:WORD_0
	v_lshlrev_b32_sdwa v69, v109, v114 dst_sel:DWORD dst_unused:UNUSED_PAD src0_sel:DWORD src1_sel:WORD_0
	v_add3_u32 v70, 0, v115, v111
	v_add3_u32 v71, 0, v116, v112
	v_cmp_gt_u32_e64 s0, 34, v90
	v_add3_u32 v68, 0, v91, v68
	v_add3_u32 v69, 0, v110, v69
	ds_write_b128 v70, v[28:31]
	ds_write_b128 v70, v[44:47] offset:1088
	ds_write_b128 v70, v[48:51] offset:2176
	ds_write_b128 v71, v[32:35]
	ds_write_b128 v71, v[52:55] offset:1088
	ds_write_b128 v71, v[56:59] offset:2176
	;; [unrolled: 3-line block ×4, first 2 shown]
	s_waitcnt lgkmcnt(0)
	s_barrier
	buffer_gl0_inv
	ds_read_b128 v[40:43], v228
	ds_read_b128 v[48:51], v228 offset:3264
	ds_read_b128 v[52:55], v228 offset:6528
	;; [unrolled: 1-line block ×9, first 2 shown]
                                        ; implicit-def: $vgpr38_vgpr39
                                        ; implicit-def: $vgpr30_vgpr31
                                        ; implicit-def: $vgpr34_vgpr35
	s_and_saveexec_b32 s1, s0
	s_cbranch_execz .LBB0_23
; %bb.22:
	ds_read_b128 v[20:23], v228 offset:2720
	ds_read_b128 v[24:27], v228 offset:5984
	;; [unrolled: 1-line block ×10, first 2 shown]
.LBB0_23:
	s_or_b32 exec_lo, exec_lo, s1
	v_mul_u32_u24_e32 v80, 9, v90
	s_mov_b32 s4, 0x134454ff
	s_mov_b32 s5, 0x3fee6f0e
	;; [unrolled: 1-line block ×4, first 2 shown]
	v_lshlrev_b32_e32 v80, 4, v80
	s_mov_b32 s6, 0x4755a5e
	s_mov_b32 s7, 0x3fe2cf23
	;; [unrolled: 1-line block ×4, first 2 shown]
	v_add_co_u32 v80, s1, s12, v80
	v_add_co_ci_u32_e64 v81, null, s13, 0, s1
	s_mov_b32 s8, 0x372fe950
	v_add_co_u32 v111, s1, 0xbb0, v80
	v_add_co_ci_u32_e64 v112, s1, 0, v81, s1
	v_add_co_u32 v103, s1, 0x800, v80
	v_add_co_ci_u32_e64 v104, s1, 0, v81, s1
	;; [unrolled: 2-line block ×3, first 2 shown]
	s_clause 0x8
	global_load_dwordx4 v[80:83], v[111:112], off offset:32
	global_load_dwordx4 v[84:87], v[103:104], off offset:1008
	;; [unrolled: 1-line block ×9, first 2 shown]
	s_mov_b32 s9, 0x3fd3c6ef
	s_mov_b32 s18, 0x9b97f4a8
	s_mov_b32 s19, 0x3fe9e377
	s_waitcnt vmcnt(0) lgkmcnt(0)
	s_barrier
	buffer_gl0_inv
	v_mul_f64 v[123:124], v[66:67], v[82:83]
	v_mul_f64 v[125:126], v[70:71], v[86:87]
	;; [unrolled: 1-line block ×17, first 2 shown]
	v_fma_f64 v[64:65], v[64:65], v[80:81], -v[123:124]
	v_fma_f64 v[68:69], v[68:69], v[84:85], -v[125:126]
	v_fma_f64 v[70:71], v[70:71], v[84:85], v[86:87]
	v_fma_f64 v[72:73], v[72:73], v[95:96], -v[127:128]
	v_fma_f64 v[74:75], v[74:75], v[95:96], v[97:98]
	v_fma_f64 v[66:67], v[66:67], v[80:81], v[82:83]
	;; [unrolled: 1-line block ×3, first 2 shown]
	v_fma_f64 v[76:77], v[76:77], v[99:100], -v[101:102]
	v_mul_f64 v[80:81], v[46:47], v[121:122]
	v_fma_f64 v[48:49], v[48:49], v[103:104], -v[131:132]
	v_fma_f64 v[50:51], v[50:51], v[103:104], v[105:106]
	v_fma_f64 v[52:53], v[52:53], v[107:108], -v[133:134]
	v_fma_f64 v[54:55], v[54:55], v[107:108], v[109:110]
	;; [unrolled: 2-line block ×4, first 2 shown]
	v_fma_f64 v[46:47], v[46:47], v[119:120], v[139:140]
	v_add_f64 v[129:130], v[64:65], -v[68:69]
	v_add_f64 v[133:134], v[68:69], -v[64:65]
	v_add_f64 v[82:83], v[68:69], v[72:73]
	v_add_f64 v[84:85], v[70:71], v[74:75]
	v_add_f64 v[105:106], v[70:71], -v[74:75]
	v_add_f64 v[86:87], v[66:67], v[78:79]
	v_add_f64 v[95:96], v[64:65], v[76:77]
	v_fma_f64 v[44:45], v[44:45], v[119:120], -v[80:81]
	v_add_f64 v[103:104], v[66:67], -v[78:79]
	v_add_f64 v[107:108], v[64:65], -v[76:77]
	;; [unrolled: 1-line block ×6, first 2 shown]
	v_add_f64 v[97:98], v[56:57], v[60:61]
	v_add_f64 v[123:124], v[58:59], v[62:63]
	;; [unrolled: 1-line block ×3, first 2 shown]
	v_add_f64 v[139:140], v[78:79], -v[74:75]
	v_add_f64 v[141:142], v[70:71], -v[66:67]
	;; [unrolled: 1-line block ×3, first 2 shown]
	v_add_f64 v[80:81], v[40:41], v[52:53]
	v_add_f64 v[121:122], v[42:43], v[54:55]
	v_add_f64 v[99:100], v[54:55], -v[46:47]
	v_add_f64 v[101:102], v[58:59], -v[62:63]
	v_fma_f64 v[82:83], v[82:83], -0.5, v[48:49]
	v_fma_f64 v[84:85], v[84:85], -0.5, v[50:51]
	v_add_f64 v[111:112], v[52:53], -v[56:57]
	v_fma_f64 v[86:87], v[86:87], -0.5, v[50:51]
	v_fma_f64 v[95:96], v[95:96], -0.5, v[48:49]
	v_add_f64 v[115:116], v[52:53], v[44:45]
	v_add_f64 v[48:49], v[48:49], v[64:65]
	;; [unrolled: 1-line block ×3, first 2 shown]
	v_add_f64 v[117:118], v[56:57], -v[52:53]
	v_add_f64 v[119:120], v[60:61], -v[44:45]
	;; [unrolled: 1-line block ×4, first 2 shown]
	v_fma_f64 v[64:65], v[97:98], -0.5, v[40:41]
	v_fma_f64 v[66:67], v[123:124], -0.5, v[42:43]
	;; [unrolled: 1-line block ×3, first 2 shown]
	v_add_f64 v[97:98], v[129:130], v[131:132]
	v_add_f64 v[123:124], v[137:138], v[139:140]
	v_add_f64 v[113:114], v[44:45], -v[60:61]
	v_add_f64 v[127:128], v[141:142], v[143:144]
	v_add_f64 v[153:154], v[54:55], -v[58:59]
	v_add_f64 v[54:55], v[58:59], -v[54:55]
	v_add_f64 v[56:57], v[80:81], v[56:57]
	v_fma_f64 v[151:152], v[103:104], s[14:15], v[82:83]
	v_fma_f64 v[145:146], v[107:108], s[14:15], v[84:85]
	;; [unrolled: 1-line block ×8, first 2 shown]
	v_fma_f64 v[40:41], v[115:116], -0.5, v[40:41]
	v_add_f64 v[115:116], v[133:134], v[135:136]
	v_add_f64 v[58:59], v[121:122], v[58:59]
	;; [unrolled: 1-line block ×4, first 2 shown]
	v_add_f64 v[155:156], v[46:47], -v[62:63]
	v_fma_f64 v[68:69], v[99:100], s[4:5], v[64:65]
	v_fma_f64 v[64:65], v[99:100], s[14:15], v[64:65]
	v_add_f64 v[157:158], v[62:63], -v[46:47]
	v_add_f64 v[80:81], v[111:112], v[113:114]
	v_add_f64 v[56:57], v[56:57], v[60:61]
	v_fma_f64 v[135:136], v[105:106], s[16:17], v[151:152]
	v_fma_f64 v[129:130], v[109:110], s[16:17], v[145:146]
	;; [unrolled: 1-line block ×8, first 2 shown]
	v_add_f64 v[103:104], v[117:118], v[119:120]
	v_fma_f64 v[70:71], v[101:102], s[14:15], v[40:41]
	v_fma_f64 v[40:41], v[101:102], s[4:5], v[40:41]
	;; [unrolled: 1-line block ×6, first 2 shown]
	v_add_f64 v[58:59], v[58:59], v[62:63]
	v_add_f64 v[48:49], v[48:49], v[72:73]
	;; [unrolled: 1-line block ×3, first 2 shown]
	v_fma_f64 v[60:61], v[101:102], s[6:7], v[68:69]
	v_fma_f64 v[62:63], v[101:102], s[16:17], v[64:65]
	v_add_f64 v[54:55], v[54:55], v[157:158]
	v_add_f64 v[56:57], v[56:57], v[44:45]
	v_fma_f64 v[117:118], v[97:98], s[8:9], v[135:136]
	v_fma_f64 v[109:110], v[123:124], s[8:9], v[129:130]
	;; [unrolled: 1-line block ×8, first 2 shown]
	v_add_f64 v[97:98], v[153:154], v[155:156]
	v_fma_f64 v[64:65], v[99:100], s[6:7], v[70:71]
	v_fma_f64 v[40:41], v[99:100], s[16:17], v[40:41]
	;; [unrolled: 1-line block ×6, first 2 shown]
	v_add_f64 v[58:59], v[58:59], v[46:47]
	v_add_f64 v[46:47], v[48:49], v[76:77]
	;; [unrolled: 1-line block ×3, first 2 shown]
	v_fma_f64 v[76:77], v[80:81], s[8:9], v[60:61]
	v_fma_f64 v[78:79], v[80:81], s[8:9], v[62:63]
	v_mul_f64 v[99:100], v[117:118], s[18:19]
	v_mul_f64 v[52:53], v[109:110], s[6:7]
	;; [unrolled: 1-line block ×8, first 2 shown]
	v_fma_f64 v[80:81], v[103:104], s[8:9], v[64:65]
	v_fma_f64 v[40:41], v[103:104], s[8:9], v[40:41]
	;; [unrolled: 1-line block ×6, first 2 shown]
	v_add_f64 v[42:43], v[56:57], v[46:47]
	v_add_f64 v[44:45], v[58:59], v[48:49]
	v_add_f64 v[46:47], v[56:57], -v[46:47]
	v_add_f64 v[48:49], v[58:59], -v[48:49]
	v_fma_f64 v[66:67], v[82:83], s[18:19], v[52:53]
	v_fma_f64 v[82:83], v[84:85], s[6:7], -v[99:100]
	v_fma_f64 v[84:85], v[109:110], s[18:19], v[101:102]
	v_fma_f64 v[70:71], v[95:96], s[8:9], v[72:73]
	v_fma_f64 v[72:73], v[86:87], s[4:5], -v[74:75]
	v_fma_f64 v[86:87], v[111:112], s[8:9], v[105:106]
	v_fma_f64 v[95:96], v[113:114], s[14:15], -v[107:108]
	v_fma_f64 v[99:100], v[117:118], s[16:17], -v[115:116]
	v_add_f64 v[50:51], v[76:77], v[66:67]
	v_add_f64 v[62:63], v[78:79], v[82:83]
	;; [unrolled: 1-line block ×8, first 2 shown]
	v_add_f64 v[66:67], v[76:77], -v[66:67]
	v_add_f64 v[68:69], v[68:69], -v[84:85]
	;; [unrolled: 1-line block ×8, first 2 shown]
	v_mov_b32_e32 v41, 0
	ds_write_b128 v228, v[42:45]
	ds_write_b128 v228, v[46:49] offset:16320
	ds_write_b128 v228, v[50:53] offset:3264
	;; [unrolled: 1-line block ×9, first 2 shown]
	s_and_saveexec_b32 s1, s0
	s_cbranch_execz .LBB0_25
; %bb.24:
	v_subrev_nc_u32_e32 v40, 34, v90
	v_cndmask_b32_e64 v40, v40, v94, s0
	v_mul_i32_i24_e32 v40, 9, v40
	v_lshlrev_b64 v[40:41], 4, v[40:41]
	v_add_co_u32 v40, s0, s12, v40
	v_add_co_ci_u32_e64 v41, s0, s13, v41, s0
	v_add_co_u32 v60, s0, 0xbb0, v40
	v_add_co_ci_u32_e64 v61, s0, 0, v41, s0
	;; [unrolled: 2-line block ×4, first 2 shown]
	s_clause 0x8
	global_load_dwordx4 v[40:43], v[60:61], off offset:32
	global_load_dwordx4 v[44:47], v[72:73], off offset:1008
	;; [unrolled: 1-line block ×9, first 2 shown]
	s_waitcnt vmcnt(8)
	v_mul_f64 v[76:77], v[18:19], v[42:43]
	s_waitcnt vmcnt(7)
	v_mul_f64 v[78:79], v[10:11], v[46:47]
	v_mul_f64 v[42:43], v[16:17], v[42:43]
	;; [unrolled: 1-line block ×3, first 2 shown]
	s_waitcnt vmcnt(6)
	v_mul_f64 v[80:81], v[32:33], v[50:51]
	s_waitcnt vmcnt(5)
	v_mul_f64 v[82:83], v[36:37], v[54:55]
	v_mul_f64 v[50:51], v[34:35], v[50:51]
	;; [unrolled: 1-line block ×3, first 2 shown]
	s_waitcnt vmcnt(0)
	v_mul_f64 v[98:99], v[26:27], v[74:75]
	v_mul_f64 v[74:75], v[24:25], v[74:75]
	;; [unrolled: 1-line block ×6, first 2 shown]
	v_fma_f64 v[16:17], v[16:17], v[40:41], -v[76:77]
	v_fma_f64 v[8:9], v[8:9], v[44:45], -v[78:79]
	v_fma_f64 v[18:19], v[18:19], v[40:41], v[42:43]
	v_fma_f64 v[10:11], v[10:11], v[44:45], v[46:47]
	;; [unrolled: 1-line block ×4, first 2 shown]
	v_fma_f64 v[32:33], v[32:33], v[48:49], -v[50:51]
	v_fma_f64 v[36:37], v[36:37], v[52:53], -v[54:55]
	v_mul_f64 v[40:41], v[6:7], v[62:63]
	v_mul_f64 v[42:43], v[2:3], v[70:71]
	v_mul_f64 v[44:45], v[14:15], v[58:59]
	v_mul_f64 v[46:47], v[30:31], v[66:67]
	v_fma_f64 v[24:25], v[24:25], v[72:73], -v[98:99]
	v_fma_f64 v[26:27], v[26:27], v[72:73], v[74:75]
	v_fma_f64 v[14:15], v[14:15], v[56:57], v[84:85]
	;; [unrolled: 1-line block ×5, first 2 shown]
	v_add_f64 v[66:67], v[16:17], -v[8:9]
	v_add_f64 v[80:81], v[8:9], -v[16:17]
	;; [unrolled: 1-line block ×3, first 2 shown]
	v_add_f64 v[48:49], v[10:11], v[34:35]
	v_add_f64 v[50:51], v[18:19], v[38:39]
	;; [unrolled: 1-line block ×4, first 2 shown]
	v_fma_f64 v[4:5], v[4:5], v[60:61], -v[40:41]
	v_fma_f64 v[0:1], v[0:1], v[68:69], -v[42:43]
	;; [unrolled: 1-line block ×4, first 2 shown]
	v_add_f64 v[40:41], v[18:19], -v[38:39]
	v_add_f64 v[44:45], v[8:9], -v[32:33]
	;; [unrolled: 1-line block ×5, first 2 shown]
	v_add_f64 v[64:65], v[6:7], v[2:3]
	v_add_f64 v[72:73], v[38:39], -v[34:35]
	v_add_f64 v[78:79], v[14:15], v[30:31]
	v_add_f64 v[82:83], v[32:33], -v[36:37]
	v_add_f64 v[84:85], v[10:11], -v[18:19]
	;; [unrolled: 1-line block ×3, first 2 shown]
	v_add_f64 v[18:19], v[26:27], v[18:19]
	v_add_f64 v[94:95], v[22:23], v[14:15]
	;; [unrolled: 1-line block ×3, first 2 shown]
	v_fma_f64 v[48:49], v[48:49], -0.5, v[26:27]
	v_fma_f64 v[50:51], v[50:51], -0.5, v[26:27]
	;; [unrolled: 1-line block ×4, first 2 shown]
	v_add_f64 v[56:57], v[14:15], -v[6:7]
	v_add_f64 v[102:103], v[4:5], v[0:1]
	v_add_f64 v[112:113], v[20:21], v[12:13]
	;; [unrolled: 1-line block ×3, first 2 shown]
	v_add_f64 v[58:59], v[30:31], -v[2:3]
	v_add_f64 v[60:61], v[4:5], -v[0:1]
	;; [unrolled: 1-line block ×7, first 2 shown]
	v_fma_f64 v[24:25], v[64:65], -0.5, v[22:23]
	v_add_f64 v[64:65], v[66:67], v[68:69]
	v_add_f64 v[66:67], v[70:71], v[72:73]
	v_fma_f64 v[22:23], v[78:79], -0.5, v[22:23]
	v_add_f64 v[68:69], v[80:81], v[82:83]
	v_add_f64 v[70:71], v[84:85], v[86:87]
	v_add_f64 v[106:107], v[12:13], -v[4:5]
	v_fma_f64 v[26:27], v[46:47], s[4:5], v[48:49]
	v_fma_f64 v[96:97], v[44:45], s[14:15], v[50:51]
	;; [unrolled: 1-line block ×8, first 2 shown]
	v_fma_f64 v[82:83], v[102:103], -0.5, v[20:21]
	v_fma_f64 v[20:21], v[104:105], -0.5, v[20:21]
	v_add_f64 v[12:13], v[4:5], -v[12:13]
	v_add_f64 v[6:7], v[94:95], v[6:7]
	v_add_f64 v[10:11], v[18:19], v[10:11]
	v_add_f64 v[4:5], v[112:113], v[4:5]
	v_add_f64 v[8:9], v[16:17], v[8:9]
	v_add_f64 v[108:109], v[28:29], -v[0:1]
	v_fma_f64 v[16:17], v[62:63], s[4:5], v[24:25]
	v_fma_f64 v[24:25], v[62:63], s[14:15], v[24:25]
	;; [unrolled: 1-line block ×4, first 2 shown]
	v_add_f64 v[84:85], v[0:1], -v[28:29]
	v_fma_f64 v[26:27], v[44:45], s[6:7], v[26:27]
	v_fma_f64 v[72:73], v[46:47], s[6:7], v[96:97]
	;; [unrolled: 1-line block ×8, first 2 shown]
	v_add_f64 v[48:49], v[56:57], v[58:59]
	v_add_f64 v[50:51], v[74:75], v[76:77]
	v_fma_f64 v[74:75], v[14:15], s[4:5], v[82:83]
	v_fma_f64 v[58:59], v[14:15], s[14:15], v[82:83]
	v_add_f64 v[2:3], v[6:7], v[2:3]
	v_add_f64 v[6:7], v[10:11], v[34:35]
	;; [unrolled: 1-line block ×4, first 2 shown]
	v_fma_f64 v[8:9], v[60:61], s[6:7], v[16:17]
	v_fma_f64 v[10:11], v[62:63], s[6:7], v[18:19]
	v_fma_f64 v[16:17], v[62:63], s[16:17], v[22:23]
	v_fma_f64 v[18:19], v[60:61], s[16:17], v[24:25]
	v_add_f64 v[12:13], v[12:13], v[84:85]
	v_fma_f64 v[26:27], v[66:67], s[8:9], v[26:27]
	v_fma_f64 v[52:53], v[70:71], s[8:9], v[72:73]
	;; [unrolled: 1-line block ×10, first 2 shown]
	v_add_f64 v[64:65], v[106:107], v[108:109]
	v_fma_f64 v[58:59], v[110:111], s[16:17], v[58:59]
	v_add_f64 v[30:31], v[2:3], v[30:31]
	v_add_f64 v[6:7], v[6:7], v[38:39]
	;; [unrolled: 1-line block ×4, first 2 shown]
	v_fma_f64 v[8:9], v[48:49], s[8:9], v[8:9]
	v_fma_f64 v[36:37], v[50:51], s[8:9], v[10:11]
	;; [unrolled: 1-line block ×4, first 2 shown]
	v_mul_f64 v[22:23], v[26:27], s[18:19]
	v_mul_f64 v[24:25], v[52:53], s[8:9]
	;; [unrolled: 1-line block ×3, first 2 shown]
	v_fma_f64 v[60:61], v[14:15], s[16:17], v[72:73]
	v_fma_f64 v[14:15], v[14:15], s[6:7], v[20:21]
	;; [unrolled: 1-line block ×3, first 2 shown]
	v_mul_f64 v[62:63], v[44:45], s[6:7]
	v_mul_f64 v[32:33], v[54:55], s[14:15]
	;; [unrolled: 1-line block ×5, first 2 shown]
	v_add_f64 v[2:3], v[30:31], -v[6:7]
	v_add_f64 v[6:7], v[30:31], v[6:7]
	v_add_f64 v[0:1], v[28:29], -v[4:5]
	v_add_f64 v[4:5], v[28:29], v[4:5]
	v_fma_f64 v[42:43], v[42:43], s[16:17], -v[22:23]
	v_fma_f64 v[24:25], v[40:41], s[14:15], -v[24:25]
	v_fma_f64 v[40:41], v[44:45], s[18:19], v[34:35]
	v_fma_f64 v[44:45], v[64:65], s[8:9], v[58:59]
	;; [unrolled: 1-line block ×8, first 2 shown]
	v_fma_f64 v[52:53], v[52:53], s[4:5], -v[68:69]
	v_fma_f64 v[54:55], v[26:27], s[6:7], -v[70:71]
	v_add_f64 v[26:27], v[8:9], v[42:43]
	v_add_f64 v[14:15], v[36:37], -v[24:25]
	v_add_f64 v[22:23], v[38:39], -v[40:41]
	v_add_f64 v[30:31], v[36:37], v[24:25]
	v_add_f64 v[38:39], v[38:39], v[40:41]
	v_add_f64 v[10:11], v[8:9], -v[42:43]
	v_add_f64 v[36:37], v[20:21], v[48:49]
	v_add_f64 v[18:19], v[16:17], -v[32:33]
	;; [unrolled: 2-line block ×3, first 2 shown]
	v_add_f64 v[32:33], v[12:13], v[50:51]
	v_add_f64 v[28:29], v[46:47], v[52:53]
	v_add_f64 v[24:25], v[44:45], v[54:55]
	v_add_f64 v[16:17], v[12:13], -v[50:51]
	v_add_f64 v[12:13], v[46:47], -v[52:53]
	;; [unrolled: 1-line block ×3, first 2 shown]
	ds_write_b128 v228, v[4:7] offset:2720
	ds_write_b128 v228, v[0:3] offset:19040
	;; [unrolled: 1-line block ×10, first 2 shown]
.LBB0_25:
	s_or_b32 exec_lo, exec_lo, s1
	s_waitcnt lgkmcnt(0)
	s_barrier
	buffer_gl0_inv
	s_and_saveexec_b32 s0, vcc_lo
	s_cbranch_execz .LBB0_27
; %bb.26:
	v_mul_lo_u32 v2, s3, v92
	v_mul_lo_u32 v3, s2, v93
	v_mad_u64_u32 v[0:1], null, s2, v92, 0
	v_lshl_add_u32 v30, v90, 4, 0
	v_mov_b32_e32 v91, 0
	v_lshlrev_b64 v[8:9], 4, v[88:89]
	v_add_nc_u32_e32 v10, 0xaa, v90
	v_add_nc_u32_e32 v13, 0x154, v90
	;; [unrolled: 1-line block ×3, first 2 shown]
	v_add3_u32 v1, v1, v3, v2
	v_lshlrev_b64 v[14:15], 4, v[90:91]
	v_mov_b32_e32 v17, v91
	v_mov_b32_e32 v29, v91
	v_lshlrev_b64 v[11:12], 4, v[0:1]
	ds_read_b128 v[0:3], v30
	ds_read_b128 v[4:7], v30 offset:2720
	v_add_co_u32 v16, vcc_lo, s10, v11
	v_add_co_ci_u32_e32 v12, vcc_lo, s11, v12, vcc_lo
	v_mov_b32_e32 v11, v91
	v_add_co_u32 v31, vcc_lo, v16, v8
	v_add_co_ci_u32_e32 v32, vcc_lo, v12, v9, vcc_lo
	v_lshlrev_b64 v[8:9], 4, v[10:11]
	v_add_co_u32 v10, vcc_lo, v31, v14
	v_add_co_ci_u32_e32 v11, vcc_lo, v32, v15, vcc_lo
	v_mov_b32_e32 v14, v91
	v_add_co_u32 v8, vcc_lo, v31, v8
	v_add_co_ci_u32_e32 v9, vcc_lo, v32, v9, vcc_lo
	v_add_nc_u32_e32 v15, 0x1fe, v90
	v_mov_b32_e32 v16, v91
	s_waitcnt lgkmcnt(1)
	global_store_dwordx4 v[10:11], v[0:3], off
	s_waitcnt lgkmcnt(0)
	global_store_dwordx4 v[8:9], v[4:7], off
	v_lshlrev_b64 v[12:13], 4, v[13:14]
	ds_read_b128 v[0:3], v30 offset:5440
	ds_read_b128 v[4:7], v30 offset:8160
	;; [unrolled: 1-line block ×3, first 2 shown]
	v_lshlrev_b64 v[14:15], 4, v[15:16]
	v_add_nc_u32_e32 v16, 0x2a8, v90
	v_add_co_u32 v20, vcc_lo, v31, v12
	v_add_co_ci_u32_e32 v21, vcc_lo, v32, v13, vcc_lo
	v_lshlrev_b64 v[12:13], 4, v[16:17]
	v_add_nc_u32_e32 v16, 0x352, v90
	v_add_co_u32 v22, vcc_lo, v31, v14
	v_add_co_ci_u32_e32 v23, vcc_lo, v32, v15, vcc_lo
	v_lshlrev_b64 v[26:27], 4, v[16:17]
	ds_read_b128 v[16:19], v30 offset:16320
	v_add_co_u32 v24, vcc_lo, v31, v12
	v_add_co_ci_u32_e32 v25, vcc_lo, v32, v13, vcc_lo
	ds_read_b128 v[12:15], v30 offset:13600
	s_waitcnt lgkmcnt(4)
	global_store_dwordx4 v[20:21], v[0:3], off
	s_waitcnt lgkmcnt(3)
	global_store_dwordx4 v[22:23], v[4:7], off
	;; [unrolled: 2-line block ×3, first 2 shown]
	v_lshlrev_b64 v[0:1], 4, v[28:29]
	v_add_co_u32 v2, vcc_lo, v31, v26
	v_add_co_ci_u32_e32 v3, vcc_lo, v32, v27, vcc_lo
	v_add_nc_u32_e32 v4, 0x4a6, v90
	v_mov_b32_e32 v5, v91
	v_add_co_u32 v6, vcc_lo, v31, v0
	v_add_co_ci_u32_e32 v7, vcc_lo, v32, v1, vcc_lo
	v_add_nc_u32_e32 v8, 0x550, v90
	v_mov_b32_e32 v9, v91
	v_lshlrev_b64 v[4:5], 4, v[4:5]
	s_waitcnt lgkmcnt(1)
	global_store_dwordx4 v[6:7], v[16:19], off
	v_add_nc_u32_e32 v24, 0x6a4, v90
	v_mov_b32_e32 v25, v91
	v_lshlrev_b64 v[6:7], 4, v[8:9]
	s_waitcnt lgkmcnt(0)
	global_store_dwordx4 v[2:3], v[12:15], off
	v_add_co_u32 v20, vcc_lo, v31, v4
	v_add_nc_u32_e32 v12, 0x5fa, v90
	v_mov_b32_e32 v13, v91
	v_add_co_ci_u32_e32 v21, vcc_lo, v32, v5, vcc_lo
	v_add_co_u32 v22, vcc_lo, v31, v6
	ds_read_b128 v[0:3], v30 offset:19040
	v_add_co_ci_u32_e32 v23, vcc_lo, v32, v7, vcc_lo
	ds_read_b128 v[4:7], v30 offset:21760
	ds_read_b128 v[8:11], v30 offset:24480
	v_lshlrev_b64 v[26:27], 4, v[12:13]
	ds_read_b128 v[12:15], v30 offset:27200
	ds_read_b128 v[16:19], v30 offset:29920
	v_add_nc_u32_e32 v90, 0x74e, v90
	v_lshlrev_b64 v[24:25], 4, v[24:25]
	v_add_co_u32 v26, vcc_lo, v31, v26
	v_lshlrev_b64 v[28:29], 4, v[90:91]
	v_add_co_ci_u32_e32 v27, vcc_lo, v32, v27, vcc_lo
	v_add_co_u32 v24, vcc_lo, v31, v24
	v_add_co_ci_u32_e32 v25, vcc_lo, v32, v25, vcc_lo
	v_add_co_u32 v28, vcc_lo, v31, v28
	v_add_co_ci_u32_e32 v29, vcc_lo, v32, v29, vcc_lo
	s_waitcnt lgkmcnt(4)
	global_store_dwordx4 v[20:21], v[0:3], off
	s_waitcnt lgkmcnt(3)
	global_store_dwordx4 v[22:23], v[4:7], off
	;; [unrolled: 2-line block ×5, first 2 shown]
.LBB0_27:
	s_endpgm
	.section	.rodata,"a",@progbits
	.p2align	6, 0x0
	.amdhsa_kernel fft_rtc_fwd_len2040_factors_17_4_3_10_wgs_170_tpt_170_halfLds_dp_op_CI_CI_unitstride_sbrr_C2R_dirReg
		.amdhsa_group_segment_fixed_size 0
		.amdhsa_private_segment_fixed_size 284
		.amdhsa_kernarg_size 104
		.amdhsa_user_sgpr_count 6
		.amdhsa_user_sgpr_private_segment_buffer 1
		.amdhsa_user_sgpr_dispatch_ptr 0
		.amdhsa_user_sgpr_queue_ptr 0
		.amdhsa_user_sgpr_kernarg_segment_ptr 1
		.amdhsa_user_sgpr_dispatch_id 0
		.amdhsa_user_sgpr_flat_scratch_init 0
		.amdhsa_user_sgpr_private_segment_size 0
		.amdhsa_wavefront_size32 1
		.amdhsa_uses_dynamic_stack 0
		.amdhsa_system_sgpr_private_segment_wavefront_offset 1
		.amdhsa_system_sgpr_workgroup_id_x 1
		.amdhsa_system_sgpr_workgroup_id_y 0
		.amdhsa_system_sgpr_workgroup_id_z 0
		.amdhsa_system_sgpr_workgroup_info 0
		.amdhsa_system_vgpr_workitem_id 0
		.amdhsa_next_free_vgpr 256
		.amdhsa_next_free_sgpr 64
		.amdhsa_reserve_vcc 1
		.amdhsa_reserve_flat_scratch 0
		.amdhsa_float_round_mode_32 0
		.amdhsa_float_round_mode_16_64 0
		.amdhsa_float_denorm_mode_32 3
		.amdhsa_float_denorm_mode_16_64 3
		.amdhsa_dx10_clamp 1
		.amdhsa_ieee_mode 1
		.amdhsa_fp16_overflow 0
		.amdhsa_workgroup_processor_mode 1
		.amdhsa_memory_ordered 1
		.amdhsa_forward_progress 0
		.amdhsa_shared_vgpr_count 0
		.amdhsa_exception_fp_ieee_invalid_op 0
		.amdhsa_exception_fp_denorm_src 0
		.amdhsa_exception_fp_ieee_div_zero 0
		.amdhsa_exception_fp_ieee_overflow 0
		.amdhsa_exception_fp_ieee_underflow 0
		.amdhsa_exception_fp_ieee_inexact 0
		.amdhsa_exception_int_div_zero 0
	.end_amdhsa_kernel
	.text
.Lfunc_end0:
	.size	fft_rtc_fwd_len2040_factors_17_4_3_10_wgs_170_tpt_170_halfLds_dp_op_CI_CI_unitstride_sbrr_C2R_dirReg, .Lfunc_end0-fft_rtc_fwd_len2040_factors_17_4_3_10_wgs_170_tpt_170_halfLds_dp_op_CI_CI_unitstride_sbrr_C2R_dirReg
                                        ; -- End function
	.section	.AMDGPU.csdata,"",@progbits
; Kernel info:
; codeLenInByte = 18468
; NumSgprs: 66
; NumVgprs: 256
; ScratchSize: 284
; MemoryBound: 0
; FloatMode: 240
; IeeeMode: 1
; LDSByteSize: 0 bytes/workgroup (compile time only)
; SGPRBlocks: 8
; VGPRBlocks: 31
; NumSGPRsForWavesPerEU: 66
; NumVGPRsForWavesPerEU: 256
; Occupancy: 4
; WaveLimiterHint : 1
; COMPUTE_PGM_RSRC2:SCRATCH_EN: 1
; COMPUTE_PGM_RSRC2:USER_SGPR: 6
; COMPUTE_PGM_RSRC2:TRAP_HANDLER: 0
; COMPUTE_PGM_RSRC2:TGID_X_EN: 1
; COMPUTE_PGM_RSRC2:TGID_Y_EN: 0
; COMPUTE_PGM_RSRC2:TGID_Z_EN: 0
; COMPUTE_PGM_RSRC2:TIDIG_COMP_CNT: 0
	.text
	.p2alignl 6, 3214868480
	.fill 48, 4, 3214868480
	.type	__hip_cuid_d71e8146a86d961f,@object ; @__hip_cuid_d71e8146a86d961f
	.section	.bss,"aw",@nobits
	.globl	__hip_cuid_d71e8146a86d961f
__hip_cuid_d71e8146a86d961f:
	.byte	0                               ; 0x0
	.size	__hip_cuid_d71e8146a86d961f, 1

	.ident	"AMD clang version 19.0.0git (https://github.com/RadeonOpenCompute/llvm-project roc-6.4.0 25133 c7fe45cf4b819c5991fe208aaa96edf142730f1d)"
	.section	".note.GNU-stack","",@progbits
	.addrsig
	.addrsig_sym __hip_cuid_d71e8146a86d961f
	.amdgpu_metadata
---
amdhsa.kernels:
  - .args:
      - .actual_access:  read_only
        .address_space:  global
        .offset:         0
        .size:           8
        .value_kind:     global_buffer
      - .offset:         8
        .size:           8
        .value_kind:     by_value
      - .actual_access:  read_only
        .address_space:  global
        .offset:         16
        .size:           8
        .value_kind:     global_buffer
      - .actual_access:  read_only
        .address_space:  global
        .offset:         24
        .size:           8
        .value_kind:     global_buffer
      - .actual_access:  read_only
        .address_space:  global
        .offset:         32
        .size:           8
        .value_kind:     global_buffer
      - .offset:         40
        .size:           8
        .value_kind:     by_value
      - .actual_access:  read_only
        .address_space:  global
        .offset:         48
        .size:           8
        .value_kind:     global_buffer
      - .actual_access:  read_only
        .address_space:  global
        .offset:         56
        .size:           8
        .value_kind:     global_buffer
      - .offset:         64
        .size:           4
        .value_kind:     by_value
      - .actual_access:  read_only
        .address_space:  global
        .offset:         72
        .size:           8
        .value_kind:     global_buffer
      - .actual_access:  read_only
        .address_space:  global
        .offset:         80
        .size:           8
        .value_kind:     global_buffer
      - .actual_access:  read_only
        .address_space:  global
        .offset:         88
        .size:           8
        .value_kind:     global_buffer
      - .actual_access:  write_only
        .address_space:  global
        .offset:         96
        .size:           8
        .value_kind:     global_buffer
    .group_segment_fixed_size: 0
    .kernarg_segment_align: 8
    .kernarg_segment_size: 104
    .language:       OpenCL C
    .language_version:
      - 2
      - 0
    .max_flat_workgroup_size: 170
    .name:           fft_rtc_fwd_len2040_factors_17_4_3_10_wgs_170_tpt_170_halfLds_dp_op_CI_CI_unitstride_sbrr_C2R_dirReg
    .private_segment_fixed_size: 284
    .sgpr_count:     66
    .sgpr_spill_count: 0
    .symbol:         fft_rtc_fwd_len2040_factors_17_4_3_10_wgs_170_tpt_170_halfLds_dp_op_CI_CI_unitstride_sbrr_C2R_dirReg.kd
    .uniform_work_group_size: 1
    .uses_dynamic_stack: false
    .vgpr_count:     256
    .vgpr_spill_count: 70
    .wavefront_size: 32
    .workgroup_processor_mode: 1
amdhsa.target:   amdgcn-amd-amdhsa--gfx1030
amdhsa.version:
  - 1
  - 2
...

	.end_amdgpu_metadata
